;; amdgpu-corpus repo=ggml-org/llama.cpp kind=compiled arch=gfx1250 opt=O3
	.amdgcn_target "amdgcn-amd-amdhsa--gfx1250"
	.amdhsa_code_object_version 6
	.section	.text._ZL12rwkv_wkv_f32ILi64EEviiiiPKfS1_S1_S1_S1_S1_Pf,"axG",@progbits,_ZL12rwkv_wkv_f32ILi64EEviiiiPKfS1_S1_S1_S1_S1_Pf,comdat
	.globl	_ZL12rwkv_wkv_f32ILi64EEviiiiPKfS1_S1_S1_S1_S1_Pf ; -- Begin function _ZL12rwkv_wkv_f32ILi64EEviiiiPKfS1_S1_S1_S1_S1_Pf
	.p2align	8
	.type	_ZL12rwkv_wkv_f32ILi64EEviiiiPKfS1_S1_S1_S1_S1_Pf,@function
_ZL12rwkv_wkv_f32ILi64EEviiiiPKfS1_S1_S1_S1_S1_Pf: ; @_ZL12rwkv_wkv_f32ILi64EEviiiiPKfS1_S1_S1_S1_S1_Pf
; %bb.0:
	s_load_b128 s[20:23], s[0:1], 0x0
	s_bfe_u32 s2, ttmp6, 0x4000c
	s_and_b32 s3, ttmp6, 15
	s_add_co_i32 s2, s2, 1
	s_getreg_b32 s4, hwreg(HW_REG_IB_STS2, 6, 4)
	s_mul_i32 s2, ttmp9, s2
	v_lshlrev_b32_e32 v83, 2, v0
	s_add_co_i32 s3, s3, s2
	s_cmp_eq_u32 s4, 0
	s_cselect_b32 s2, ttmp9, s3
	s_delay_alu instid0(SALU_CYCLE_1) | instskip(SKIP_2) | instid1(SALU_CYCLE_1)
	s_abs_i32 s6, s2
	s_wait_kmcnt 0x0
	s_abs_i32 s3, s23
	s_cvt_f32_u32 s4, s3
	s_sub_co_i32 s5, 0, s3
	s_delay_alu instid0(SALU_CYCLE_2) | instskip(SKIP_1) | instid1(TRANS32_DEP_1)
	v_rcp_iflag_f32_e32 v1, s4
	v_nop
	v_readfirstlane_b32 s4, v1
	s_mul_f32 s4, s4, 0x4f7ffffe
	s_delay_alu instid0(SALU_CYCLE_3) | instskip(NEXT) | instid1(SALU_CYCLE_3)
	s_cvt_u32_f32 s4, s4
	s_mul_i32 s5, s5, s4
	s_delay_alu instid0(SALU_CYCLE_1) | instskip(NEXT) | instid1(SALU_CYCLE_1)
	s_mul_hi_u32 s5, s4, s5
	s_add_co_i32 s4, s4, s5
	s_delay_alu instid0(SALU_CYCLE_1)
	s_mul_hi_u32 s12, s6, s4
	s_xor_b32 s4, s2, s23
	s_mul_i32 s5, s12, s3
	s_ashr_i32 s13, s4, 31
	s_sub_co_i32 s14, s6, s5
	s_add_co_i32 s15, s12, 1
	s_sub_co_i32 s16, s14, s3
	s_cmp_ge_u32 s14, s3
	s_load_b256 s[4:11], s[0:1], 0x30
	s_wait_kmcnt 0x0
	s_cselect_b32 s10, s15, s12
	s_cselect_b32 s11, s16, s14
	s_add_co_i32 s12, s10, 1
	s_cmp_ge_u32 s11, s3
	s_cselect_b32 s3, s12, s10
	s_delay_alu instid0(SALU_CYCLE_1) | instskip(NEXT) | instid1(SALU_CYCLE_1)
	s_xor_b32 s3, s3, s13
	s_sub_co_i32 s3, s3, s13
	s_load_b256 s[12:19], s[0:1], 0x10
	s_mul_i32 s10, s3, s23
	s_mul_i32 s11, s22, s3
	s_sub_co_i32 s2, s2, s10
	s_lshl_b32 s10, s11, 6
	s_lshl_b32 s11, s2, 12
	v_lshl_add_u32 v1, s2, 6, v0
	v_add3_u32 v81, s11, s10, v0
	s_wait_xcnt 0x0
	s_abs_i32 s0, s20
	s_clause 0x3e
	global_load_b32 v50, v81, s[6:7] scale_offset
	global_load_b32 v51, v81, s[6:7] offset:256 scale_offset
	global_load_b32 v48, v81, s[6:7] offset:512 scale_offset
	;; [unrolled: 1-line block ×63, first 2 shown]
	s_wait_loadcnt 0x0
	s_barrier_signal -1
	s_barrier_wait -1
	s_cvt_f32_u32 s1, s0
	s_sub_co_i32 s2, 0, s0
	s_wait_xcnt 0x0
	s_abs_i32 s6, s21
	s_wait_kmcnt 0x0
	global_load_b32 v2, v1, s[18:19] scale_offset
	v_rcp_iflag_f32_e32 v3, s1
	v_nop
	s_delay_alu instid0(TRANS32_DEP_1) | instskip(SKIP_1) | instid1(SALU_CYCLE_3)
	v_readfirstlane_b32 s1, v3
	s_mul_f32 s1, s1, 0x4f7ffffe
	s_cvt_u32_f32 s1, s1
	s_delay_alu instid0(SALU_CYCLE_3) | instskip(NEXT) | instid1(SALU_CYCLE_1)
	s_mul_i32 s2, s2, s1
	s_mul_hi_u32 s2, s1, s2
	s_delay_alu instid0(SALU_CYCLE_1) | instskip(SKIP_4) | instid1(SALU_CYCLE_1)
	s_add_co_i32 s1, s1, s2
	s_xor_b32 s2, s21, s20
	s_mul_hi_u32 s1, s6, s1
	s_ashr_i32 s2, s2, 31
	s_mul_i32 s7, s1, s0
	s_sub_co_i32 s6, s6, s7
	s_add_co_i32 s7, s1, 1
	s_sub_co_i32 s10, s6, s0
	s_cmp_ge_u32 s6, s0
	s_cselect_b32 s1, s7, s1
	s_cselect_b32 s6, s10, s6
	s_add_co_i32 s7, s1, 1
	s_cmp_ge_u32 s6, s0
	s_cselect_b32 s0, s7, s1
	s_add_co_i32 s1, s3, 1
	s_xor_b32 s0, s0, s2
	s_delay_alu instid0(SALU_CYCLE_1) | instskip(SKIP_2) | instid1(SALU_CYCLE_1)
	s_sub_co_i32 s0, s0, s2
	s_mov_b32 s2, 0
	s_mul_i32 s0, s0, s22
	v_mad_u32 v82, s0, s1, v1
	v_mad_u32 v76, s0, s3, v1
	s_mov_b32 s3, exec_lo
	s_wait_loadcnt 0x0
	ds_store_b32 v83, v2 offset:768
	s_wait_dscnt 0x0
	s_barrier_signal -1
	s_barrier_wait -1
	v_cmpx_lt_i32_e64 v76, v82
	s_cbranch_execz .LBB0_4
; %bb.1:
	v_dual_ashrrev_i32 v77, 31, v76 :: v_dual_mov_b32 v85, 0
	v_add_nc_u32_e32 v84, 0x100, v83
	s_ashr_i32 s23, s22, 31
	s_delay_alu instid0(SALU_CYCLE_1) | instskip(NEXT) | instid1(VALU_DEP_2)
	s_lshl_b64 s[0:1], s[22:23], 2
	v_lshlrev_b64_e32 v[78:79], 2, v[76:77]
	v_add_nc_u32_e32 v77, 0x200, v83
.LBB0_2:                                ; =>This Inner Loop Header: Depth=1
	s_delay_alu instid0(VALU_DEP_2)
	v_add_nc_u64_e32 v[0:1], s[12:13], v[78:79]
	s_barrier_signal -1
	s_barrier_wait -1
	v_dual_mov_b32 v98, v50 :: v_dual_add_nc_u32 v76, s22, v76
	global_load_b32 v0, v[0:1], off
	v_cmp_ge_i32_e32 vcc_lo, v76, v82
	s_or_b32 s2, vcc_lo, s2
	s_wait_loadcnt 0x0
	ds_store_b32 v83, v0
	s_wait_xcnt 0x0
	v_add_nc_u64_e32 v[0:1], s[16:17], v[78:79]
	global_load_b32 v0, v[0:1], off
	s_wait_loadcnt 0x0
	ds_store_b32 v84, v0
	s_wait_xcnt 0x0
	v_add_nc_u64_e32 v[0:1], s[4:5], v[78:79]
	global_load_b32 v0, v[0:1], off
	s_wait_loadcnt 0x0
	ds_store_b32 v77, v0
	s_wait_xcnt 0x0
	v_add_nc_u64_e32 v[0:1], s[14:15], v[78:79]
	s_wait_dscnt 0x0
	s_barrier_signal -1
	s_barrier_wait -1
	global_load_b32 v80, v[0:1], off
	ds_load_b128 v[8:11], v85 offset:256
	ds_load_b128 v[86:89], v85 offset:768
	ds_load_b128 v[90:93], v85
	ds_load_b128 v[94:97], v85 offset:16
	ds_load_b128 v[4:7], v85 offset:32
	s_wait_xcnt 0x0
	ds_load_b128 v[0:3], v85 offset:48
	s_wait_loadcnt_dscnt 0x3
	v_pk_mul_f32 v[90:91], v[80:81], v[90:91] op_sel_hi:[0,1]
	s_wait_dscnt 0x1
	v_pk_mul_f32 v[4:5], v[80:81], v[4:5] op_sel_hi:[0,1]
	s_wait_dscnt 0x0
	v_pk_mul_f32 v[0:1], v[80:81], v[0:1] op_sel_hi:[0,1]
	v_fmac_f32_e32 v98, v90, v86
	s_delay_alu instid0(VALU_DEP_1) | instskip(SKIP_3) | instid1(VALU_DEP_1)
	v_fma_f32 v86, v8, v98, 0
	v_mov_b32_e32 v8, v51
	ds_load_b128 v[98:101], v85 offset:512
	v_dual_fmac_f32 v8, v91, v87 :: v_dual_mov_b32 v87, v48
	v_fmac_f32_e32 v86, v9, v8
	v_pk_mul_f32 v[8:9], v[80:81], v[92:93] op_sel_hi:[0,1]
	s_delay_alu instid0(VALU_DEP_1) | instskip(NEXT) | instid1(VALU_DEP_1)
	v_fmac_f32_e32 v87, v8, v88
	v_dual_fmac_f32 v86, v10, v87 :: v_dual_mov_b32 v10, v49
	s_wait_dscnt 0x0
	v_pk_fma_f32 v[50:51], v[50:51], v[98:99], v[90:91]
	v_pk_fma_f32 v[48:49], v[48:49], v[100:101], v[8:9]
	v_pk_mul_f32 v[98:99], v[80:81], v[94:95] op_sel_hi:[0,1]
	v_dual_mov_b32 v87, v46 :: v_dual_fmac_f32 v10, v9, v89
	s_delay_alu instid0(VALU_DEP_1)
	v_fmac_f32_e32 v86, v11, v10
	ds_load_b128 v[8:11], v85 offset:272
	ds_load_b128 v[88:91], v85 offset:784
	;; [unrolled: 1-line block ×3, first 2 shown]
	s_wait_dscnt 0x1
	v_fmac_f32_e32 v87, v98, v88
	s_delay_alu instid0(VALU_DEP_1) | instskip(SKIP_3) | instid1(VALU_DEP_3)
	v_dual_fmac_f32 v86, v8, v87 :: v_dual_mov_b32 v8, v47
	v_mov_b32_e32 v87, v44
	s_wait_dscnt 0x0
	v_pk_fma_f32 v[46:47], v[46:47], v[92:93], v[98:99]
	v_fmac_f32_e32 v8, v99, v89
	s_delay_alu instid0(VALU_DEP_1) | instskip(SKIP_1) | instid1(VALU_DEP_1)
	v_fmac_f32_e32 v86, v9, v8
	v_pk_mul_f32 v[8:9], v[80:81], v[96:97] op_sel_hi:[0,1]
	v_fmac_f32_e32 v87, v8, v90
	s_delay_alu instid0(VALU_DEP_1) | instskip(NEXT) | instid1(VALU_DEP_3)
	v_dual_fmac_f32 v86, v10, v87 :: v_dual_mov_b32 v10, v45
	v_pk_fma_f32 v[44:45], v[44:45], v[94:95], v[8:9]
	s_delay_alu instid0(VALU_DEP_2) | instskip(NEXT) | instid1(VALU_DEP_1)
	v_dual_mov_b32 v87, v42 :: v_dual_fmac_f32 v10, v9, v91
	v_fmac_f32_e32 v86, v11, v10
	ds_load_b128 v[8:11], v85 offset:288
	ds_load_b128 v[88:91], v85 offset:800
	;; [unrolled: 1-line block ×3, first 2 shown]
	s_wait_dscnt 0x1
	v_fmac_f32_e32 v87, v4, v88
	s_delay_alu instid0(VALU_DEP_1) | instskip(SKIP_2) | instid1(VALU_DEP_2)
	v_dual_fmac_f32 v86, v8, v87 :: v_dual_mov_b32 v8, v43
	s_wait_dscnt 0x0
	v_pk_fma_f32 v[42:43], v[42:43], v[92:93], v[4:5]
	v_dual_mov_b32 v87, v38 :: v_dual_fmac_f32 v8, v5, v89
	v_pk_mul_f32 v[4:5], v[80:81], v[6:7] op_sel_hi:[0,1]
	s_delay_alu instid0(VALU_DEP_2) | instskip(NEXT) | instid1(VALU_DEP_1)
	v_dual_mov_b32 v6, v40 :: v_dual_fmac_f32 v86, v9, v8
	v_fmac_f32_e32 v6, v4, v90
	s_delay_alu instid0(VALU_DEP_1) | instskip(NEXT) | instid1(VALU_DEP_4)
	v_dual_fmac_f32 v86, v10, v6 :: v_dual_mov_b32 v6, v41
	v_pk_fma_f32 v[40:41], v[40:41], v[94:95], v[4:5]
	s_delay_alu instid0(VALU_DEP_2) | instskip(NEXT) | instid1(VALU_DEP_1)
	v_fmac_f32_e32 v6, v5, v91
	v_fmac_f32_e32 v86, v11, v6
	ds_load_b128 v[4:7], v85 offset:304
	ds_load_b128 v[8:11], v85 offset:816
	;; [unrolled: 1-line block ×3, first 2 shown]
	s_wait_dscnt 0x1
	v_fmac_f32_e32 v87, v0, v8
	s_delay_alu instid0(VALU_DEP_1) | instskip(SKIP_2) | instid1(VALU_DEP_2)
	v_dual_fmac_f32 v86, v4, v87 :: v_dual_mov_b32 v4, v39
	s_wait_dscnt 0x0
	v_pk_fma_f32 v[38:39], v[38:39], v[88:89], v[0:1]
	v_dual_mov_b32 v87, v34 :: v_dual_fmac_f32 v4, v1, v9
	v_pk_mul_f32 v[0:1], v[80:81], v[2:3] op_sel_hi:[0,1]
	s_delay_alu instid0(VALU_DEP_2) | instskip(NEXT) | instid1(VALU_DEP_1)
	v_dual_mov_b32 v2, v36 :: v_dual_fmac_f32 v86, v5, v4
	v_fmac_f32_e32 v2, v0, v10
	s_delay_alu instid0(VALU_DEP_1) | instskip(NEXT) | instid1(VALU_DEP_4)
	v_dual_fmac_f32 v86, v6, v2 :: v_dual_mov_b32 v2, v37
	v_pk_fma_f32 v[36:37], v[36:37], v[90:91], v[0:1]
	s_delay_alu instid0(VALU_DEP_2) | instskip(NEXT) | instid1(VALU_DEP_1)
	v_fmac_f32_e32 v2, v1, v11
	v_fmac_f32_e32 v86, v7, v2
	ds_load_b128 v[0:3], v85 offset:320
	ds_load_b128 v[4:7], v85 offset:832
	ds_load_b128 v[8:11], v85 offset:64
	ds_load_b128 v[88:91], v85 offset:576
	s_wait_dscnt 0x1
	v_pk_mul_f32 v[8:9], v[80:81], v[8:9] op_sel_hi:[0,1]
	s_delay_alu instid0(VALU_DEP_1) | instskip(SKIP_1) | instid1(VALU_DEP_2)
	v_fmac_f32_e32 v87, v8, v4
	v_mov_b32_e32 v4, v32
	v_dual_fmac_f32 v86, v0, v87 :: v_dual_mov_b32 v0, v35
	v_mov_b32_e32 v87, v30
	s_wait_dscnt 0x0
	v_pk_fma_f32 v[34:35], v[34:35], v[88:89], v[8:9]
	s_delay_alu instid0(VALU_DEP_3) | instskip(NEXT) | instid1(VALU_DEP_1)
	v_fmac_f32_e32 v0, v9, v5
	v_fmac_f32_e32 v86, v1, v0
	v_pk_mul_f32 v[0:1], v[80:81], v[10:11] op_sel_hi:[0,1]
	s_delay_alu instid0(VALU_DEP_1) | instskip(NEXT) | instid1(VALU_DEP_1)
	v_fmac_f32_e32 v4, v0, v6
	v_dual_fmac_f32 v86, v2, v4 :: v_dual_mov_b32 v2, v33
	s_delay_alu instid0(VALU_DEP_3) | instskip(NEXT) | instid1(VALU_DEP_2)
	v_pk_fma_f32 v[32:33], v[32:33], v[90:91], v[0:1]
	v_fmac_f32_e32 v2, v1, v7
	s_delay_alu instid0(VALU_DEP_1)
	v_fmac_f32_e32 v86, v3, v2
	ds_load_b128 v[0:3], v85 offset:336
	ds_load_b128 v[4:7], v85 offset:848
	ds_load_b128 v[8:11], v85 offset:80
	ds_load_b128 v[88:91], v85 offset:592
	s_wait_dscnt 0x1
	v_pk_mul_f32 v[8:9], v[80:81], v[8:9] op_sel_hi:[0,1]
	s_delay_alu instid0(VALU_DEP_1) | instskip(SKIP_1) | instid1(VALU_DEP_2)
	v_fmac_f32_e32 v87, v8, v4
	v_mov_b32_e32 v4, v28
	v_dual_fmac_f32 v86, v0, v87 :: v_dual_mov_b32 v0, v31
	v_mov_b32_e32 v87, v26
	s_wait_dscnt 0x0
	v_pk_fma_f32 v[30:31], v[30:31], v[88:89], v[8:9]
	s_delay_alu instid0(VALU_DEP_3) | instskip(NEXT) | instid1(VALU_DEP_1)
	v_fmac_f32_e32 v0, v9, v5
	v_fmac_f32_e32 v86, v1, v0
	v_pk_mul_f32 v[0:1], v[80:81], v[10:11] op_sel_hi:[0,1]
	s_delay_alu instid0(VALU_DEP_1) | instskip(NEXT) | instid1(VALU_DEP_1)
	v_fmac_f32_e32 v4, v0, v6
	v_dual_fmac_f32 v86, v2, v4 :: v_dual_mov_b32 v2, v29
	s_delay_alu instid0(VALU_DEP_3) | instskip(NEXT) | instid1(VALU_DEP_2)
	v_pk_fma_f32 v[28:29], v[28:29], v[90:91], v[0:1]
	v_fmac_f32_e32 v2, v1, v7
	s_delay_alu instid0(VALU_DEP_1)
	;; [unrolled: 25-line block ×8, first 2 shown]
	v_fmac_f32_e32 v86, v3, v2
	ds_load_b128 v[0:3], v85 offset:448
	ds_load_b128 v[4:7], v85 offset:960
	;; [unrolled: 1-line block ×4, first 2 shown]
	s_wait_dscnt 0x1
	v_pk_mul_f32 v[8:9], v[80:81], v[8:9] op_sel_hi:[0,1]
	s_delay_alu instid0(VALU_DEP_1) | instskip(SKIP_1) | instid1(VALU_DEP_2)
	v_fmac_f32_e32 v87, v8, v4
	v_mov_b32_e32 v4, v64
	v_dual_fmac_f32 v86, v0, v87 :: v_dual_mov_b32 v0, v67
	s_wait_dscnt 0x0
	v_pk_fma_f32 v[66:67], v[66:67], v[88:89], v[8:9]
	s_delay_alu instid0(VALU_DEP_2) | instskip(NEXT) | instid1(VALU_DEP_1)
	v_fmac_f32_e32 v0, v9, v5
	v_fmac_f32_e32 v86, v1, v0
	v_pk_mul_f32 v[0:1], v[80:81], v[10:11] op_sel_hi:[0,1]
	s_delay_alu instid0(VALU_DEP_1) | instskip(NEXT) | instid1(VALU_DEP_1)
	v_fmac_f32_e32 v4, v0, v6
	v_dual_fmac_f32 v86, v2, v4 :: v_dual_mov_b32 v2, v65
	s_delay_alu instid0(VALU_DEP_3) | instskip(NEXT) | instid1(VALU_DEP_2)
	v_pk_fma_f32 v[64:65], v[64:65], v[90:91], v[0:1]
	v_fmac_f32_e32 v2, v1, v7
	s_delay_alu instid0(VALU_DEP_1)
	v_fmac_f32_e32 v86, v3, v2
	ds_load_b128 v[0:3], v85 offset:208
	ds_load_b128 v[4:7], v85 offset:464
	;; [unrolled: 1-line block ×3, first 2 shown]
	s_wait_dscnt 0x2
	v_pk_mul_f32 v[0:1], v[80:81], v[0:1] op_sel_hi:[0,1]
	s_wait_dscnt 0x0
	s_delay_alu instid0(VALU_DEP_1) | instskip(NEXT) | instid1(VALU_DEP_1)
	v_pk_fma_f32 v[8:9], v[0:1], v[8:9], v[62:63]
	v_pk_mul_f32 v[4:5], v[4:5], v[8:9]
	s_delay_alu instid0(VALU_DEP_1)
	v_add_f32_e32 v4, v86, v4
	ds_load_b128 v[86:89], v85 offset:720
	v_add_f32_e32 v4, v4, v5
	s_wait_dscnt 0x0
	v_pk_fma_f32 v[62:63], v[62:63], v[86:87], v[0:1]
	v_pk_mul_f32 v[0:1], v[80:81], v[2:3] op_sel_hi:[0,1]
	s_delay_alu instid0(VALU_DEP_1) | instskip(SKIP_1) | instid1(VALU_DEP_2)
	v_pk_fma_f32 v[2:3], v[0:1], v[10:11], v[60:61]
	v_pk_fma_f32 v[60:61], v[60:61], v[88:89], v[0:1]
	v_pk_mul_f32 v[2:3], v[6:7], v[2:3]
	s_delay_alu instid0(VALU_DEP_1) | instskip(NEXT) | instid1(VALU_DEP_1)
	v_add_f32_e32 v2, v4, v2
	v_add_f32_e32 v86, v2, v3
	ds_load_b128 v[0:3], v85 offset:224
	ds_load_b128 v[4:7], v85 offset:480
	;; [unrolled: 1-line block ×3, first 2 shown]
	s_wait_dscnt 0x2
	v_pk_mul_f32 v[0:1], v[80:81], v[0:1] op_sel_hi:[0,1]
	s_wait_dscnt 0x0
	s_delay_alu instid0(VALU_DEP_1) | instskip(NEXT) | instid1(VALU_DEP_1)
	v_pk_fma_f32 v[8:9], v[0:1], v[8:9], v[74:75]
	v_pk_mul_f32 v[4:5], v[4:5], v[8:9]
	s_delay_alu instid0(VALU_DEP_1)
	v_add_f32_e32 v4, v86, v4
	ds_load_b128 v[86:89], v85 offset:736
	v_add_f32_e32 v4, v4, v5
	s_wait_dscnt 0x0
	v_pk_fma_f32 v[74:75], v[74:75], v[86:87], v[0:1]
	v_pk_mul_f32 v[0:1], v[80:81], v[2:3] op_sel_hi:[0,1]
	s_delay_alu instid0(VALU_DEP_1) | instskip(SKIP_1) | instid1(VALU_DEP_2)
	v_pk_fma_f32 v[2:3], v[0:1], v[10:11], v[72:73]
	v_pk_fma_f32 v[72:73], v[72:73], v[88:89], v[0:1]
	v_pk_mul_f32 v[2:3], v[6:7], v[2:3]
	s_delay_alu instid0(VALU_DEP_1) | instskip(NEXT) | instid1(VALU_DEP_1)
	v_add_f32_e32 v2, v4, v2
	v_add_f32_e32 v86, v2, v3
	ds_load_b128 v[0:3], v85 offset:240
	ds_load_b128 v[4:7], v85 offset:496
	;; [unrolled: 1-line block ×3, first 2 shown]
	s_wait_dscnt 0x2
	v_pk_mul_f32 v[0:1], v[80:81], v[0:1] op_sel_hi:[0,1]
	s_wait_dscnt 0x0
	s_delay_alu instid0(VALU_DEP_1) | instskip(NEXT) | instid1(VALU_DEP_1)
	v_pk_fma_f32 v[8:9], v[0:1], v[8:9], v[70:71]
	v_pk_mul_f32 v[4:5], v[4:5], v[8:9]
	s_delay_alu instid0(VALU_DEP_1)
	v_add_f32_e32 v4, v86, v4
	ds_load_b128 v[86:89], v85 offset:752
	v_add_f32_e32 v4, v4, v5
	s_wait_dscnt 0x0
	v_pk_fma_f32 v[70:71], v[70:71], v[86:87], v[0:1]
	v_pk_mul_f32 v[0:1], v[80:81], v[2:3] op_sel_hi:[0,1]
	s_delay_alu instid0(VALU_DEP_1) | instskip(SKIP_3) | instid1(VALU_DEP_4)
	v_pk_fma_f32 v[2:3], v[0:1], v[10:11], v[68:69]
	v_pk_fma_f32 v[68:69], v[68:69], v[88:89], v[0:1]
	v_add_nc_u64_e32 v[0:1], s[8:9], v[78:79]
	v_add_nc_u64_e32 v[78:79], s[0:1], v[78:79]
	v_pk_mul_f32 v[2:3], v[6:7], v[2:3]
	s_delay_alu instid0(VALU_DEP_1) | instskip(NEXT) | instid1(VALU_DEP_1)
	v_add_f32_e32 v2, v4, v2
	v_add_f32_e32 v2, v2, v3
	global_store_b32 v[0:1], v2, off
	s_wait_xcnt 0x0
	s_and_not1_b32 exec_lo, exec_lo, s2
	s_cbranch_execnz .LBB0_2
; %bb.3:
	s_or_b32 exec_lo, exec_lo, s2
.LBB0_4:
	s_delay_alu instid0(SALU_CYCLE_1)
	s_or_b32 exec_lo, exec_lo, s3
	v_mad_u32 v0, s22, s21, v81
	s_clause 0x3e
	global_store_b32 v0, v50, s[8:9] scale_offset
	global_store_b32 v0, v51, s[8:9] offset:256 scale_offset
	global_store_b32 v0, v48, s[8:9] offset:512 scale_offset
	global_store_b32 v0, v49, s[8:9] offset:768 scale_offset
	global_store_b32 v0, v46, s[8:9] offset:1024 scale_offset
	global_store_b32 v0, v47, s[8:9] offset:1280 scale_offset
	global_store_b32 v0, v44, s[8:9] offset:1536 scale_offset
	global_store_b32 v0, v45, s[8:9] offset:1792 scale_offset
	global_store_b32 v0, v42, s[8:9] offset:2048 scale_offset
	global_store_b32 v0, v43, s[8:9] offset:2304 scale_offset
	global_store_b32 v0, v40, s[8:9] offset:2560 scale_offset
	global_store_b32 v0, v41, s[8:9] offset:2816 scale_offset
	global_store_b32 v0, v38, s[8:9] offset:3072 scale_offset
	global_store_b32 v0, v39, s[8:9] offset:3328 scale_offset
	global_store_b32 v0, v36, s[8:9] offset:3584 scale_offset
	global_store_b32 v0, v37, s[8:9] offset:3840 scale_offset
	global_store_b32 v0, v34, s[8:9] offset:4096 scale_offset
	global_store_b32 v0, v35, s[8:9] offset:4352 scale_offset
	global_store_b32 v0, v32, s[8:9] offset:4608 scale_offset
	global_store_b32 v0, v33, s[8:9] offset:4864 scale_offset
	global_store_b32 v0, v30, s[8:9] offset:5120 scale_offset
	global_store_b32 v0, v31, s[8:9] offset:5376 scale_offset
	global_store_b32 v0, v28, s[8:9] offset:5632 scale_offset
	global_store_b32 v0, v29, s[8:9] offset:5888 scale_offset
	global_store_b32 v0, v26, s[8:9] offset:6144 scale_offset
	global_store_b32 v0, v27, s[8:9] offset:6400 scale_offset
	global_store_b32 v0, v24, s[8:9] offset:6656 scale_offset
	global_store_b32 v0, v25, s[8:9] offset:6912 scale_offset
	global_store_b32 v0, v22, s[8:9] offset:7168 scale_offset
	global_store_b32 v0, v23, s[8:9] offset:7424 scale_offset
	global_store_b32 v0, v20, s[8:9] offset:7680 scale_offset
	global_store_b32 v0, v21, s[8:9] offset:7936 scale_offset
	global_store_b32 v0, v18, s[8:9] offset:8192 scale_offset
	global_store_b32 v0, v19, s[8:9] offset:8448 scale_offset
	global_store_b32 v0, v16, s[8:9] offset:8704 scale_offset
	global_store_b32 v0, v17, s[8:9] offset:8960 scale_offset
	global_store_b32 v0, v14, s[8:9] offset:9216 scale_offset
	global_store_b32 v0, v15, s[8:9] offset:9472 scale_offset
	global_store_b32 v0, v12, s[8:9] offset:9728 scale_offset
	global_store_b32 v0, v13, s[8:9] offset:9984 scale_offset
	global_store_b32 v0, v58, s[8:9] offset:10240 scale_offset
	global_store_b32 v0, v59, s[8:9] offset:10496 scale_offset
	global_store_b32 v0, v56, s[8:9] offset:10752 scale_offset
	global_store_b32 v0, v57, s[8:9] offset:11008 scale_offset
	global_store_b32 v0, v54, s[8:9] offset:11264 scale_offset
	global_store_b32 v0, v55, s[8:9] offset:11520 scale_offset
	global_store_b32 v0, v52, s[8:9] offset:11776 scale_offset
	global_store_b32 v0, v53, s[8:9] offset:12032 scale_offset
	global_store_b32 v0, v66, s[8:9] offset:12288 scale_offset
	global_store_b32 v0, v67, s[8:9] offset:12544 scale_offset
	global_store_b32 v0, v64, s[8:9] offset:12800 scale_offset
	global_store_b32 v0, v65, s[8:9] offset:13056 scale_offset
	global_store_b32 v0, v62, s[8:9] offset:13312 scale_offset
	global_store_b32 v0, v63, s[8:9] offset:13568 scale_offset
	global_store_b32 v0, v60, s[8:9] offset:13824 scale_offset
	global_store_b32 v0, v61, s[8:9] offset:14080 scale_offset
	global_store_b32 v0, v74, s[8:9] offset:14336 scale_offset
	global_store_b32 v0, v75, s[8:9] offset:14592 scale_offset
	global_store_b32 v0, v72, s[8:9] offset:14848 scale_offset
	global_store_b32 v0, v73, s[8:9] offset:15104 scale_offset
	global_store_b32 v0, v70, s[8:9] offset:15360 scale_offset
	global_store_b32 v0, v71, s[8:9] offset:15616 scale_offset
	global_store_b32 v0, v68, s[8:9] offset:15872 scale_offset
	global_store_b32 v0, v69, s[8:9] offset:16128 scale_offset
	s_sendmsg sendmsg(MSG_DEALLOC_VGPRS)
	s_endpgm
	.section	.rodata,"a",@progbits
	.p2align	6, 0x0
	.amdhsa_kernel _ZL12rwkv_wkv_f32ILi64EEviiiiPKfS1_S1_S1_S1_S1_Pf
		.amdhsa_group_segment_fixed_size 1024
		.amdhsa_private_segment_fixed_size 0
		.amdhsa_kernarg_size 72
		.amdhsa_user_sgpr_count 2
		.amdhsa_user_sgpr_dispatch_ptr 0
		.amdhsa_user_sgpr_queue_ptr 0
		.amdhsa_user_sgpr_kernarg_segment_ptr 1
		.amdhsa_user_sgpr_dispatch_id 0
		.amdhsa_user_sgpr_kernarg_preload_length 0
		.amdhsa_user_sgpr_kernarg_preload_offset 0
		.amdhsa_user_sgpr_private_segment_size 0
		.amdhsa_wavefront_size32 1
		.amdhsa_uses_dynamic_stack 0
		.amdhsa_enable_private_segment 0
		.amdhsa_system_sgpr_workgroup_id_x 1
		.amdhsa_system_sgpr_workgroup_id_y 0
		.amdhsa_system_sgpr_workgroup_id_z 0
		.amdhsa_system_sgpr_workgroup_info 0
		.amdhsa_system_vgpr_workitem_id 0
		.amdhsa_next_free_vgpr 102
		.amdhsa_next_free_sgpr 24
		.amdhsa_named_barrier_count 0
		.amdhsa_reserve_vcc 1
		.amdhsa_float_round_mode_32 0
		.amdhsa_float_round_mode_16_64 0
		.amdhsa_float_denorm_mode_32 3
		.amdhsa_float_denorm_mode_16_64 3
		.amdhsa_fp16_overflow 0
		.amdhsa_memory_ordered 1
		.amdhsa_forward_progress 1
		.amdhsa_inst_pref_size 37
		.amdhsa_round_robin_scheduling 0
		.amdhsa_exception_fp_ieee_invalid_op 0
		.amdhsa_exception_fp_denorm_src 0
		.amdhsa_exception_fp_ieee_div_zero 0
		.amdhsa_exception_fp_ieee_overflow 0
		.amdhsa_exception_fp_ieee_underflow 0
		.amdhsa_exception_fp_ieee_inexact 0
		.amdhsa_exception_int_div_zero 0
	.end_amdhsa_kernel
	.section	.text._ZL12rwkv_wkv_f32ILi64EEviiiiPKfS1_S1_S1_S1_S1_Pf,"axG",@progbits,_ZL12rwkv_wkv_f32ILi64EEviiiiPKfS1_S1_S1_S1_S1_Pf,comdat
.Lfunc_end0:
	.size	_ZL12rwkv_wkv_f32ILi64EEviiiiPKfS1_S1_S1_S1_S1_Pf, .Lfunc_end0-_ZL12rwkv_wkv_f32ILi64EEviiiiPKfS1_S1_S1_S1_S1_Pf
                                        ; -- End function
	.set _ZL12rwkv_wkv_f32ILi64EEviiiiPKfS1_S1_S1_S1_S1_Pf.num_vgpr, 102
	.set _ZL12rwkv_wkv_f32ILi64EEviiiiPKfS1_S1_S1_S1_S1_Pf.num_agpr, 0
	.set _ZL12rwkv_wkv_f32ILi64EEviiiiPKfS1_S1_S1_S1_S1_Pf.numbered_sgpr, 24
	.set _ZL12rwkv_wkv_f32ILi64EEviiiiPKfS1_S1_S1_S1_S1_Pf.num_named_barrier, 0
	.set _ZL12rwkv_wkv_f32ILi64EEviiiiPKfS1_S1_S1_S1_S1_Pf.private_seg_size, 0
	.set _ZL12rwkv_wkv_f32ILi64EEviiiiPKfS1_S1_S1_S1_S1_Pf.uses_vcc, 1
	.set _ZL12rwkv_wkv_f32ILi64EEviiiiPKfS1_S1_S1_S1_S1_Pf.uses_flat_scratch, 0
	.set _ZL12rwkv_wkv_f32ILi64EEviiiiPKfS1_S1_S1_S1_S1_Pf.has_dyn_sized_stack, 0
	.set _ZL12rwkv_wkv_f32ILi64EEviiiiPKfS1_S1_S1_S1_S1_Pf.has_recursion, 0
	.set _ZL12rwkv_wkv_f32ILi64EEviiiiPKfS1_S1_S1_S1_S1_Pf.has_indirect_call, 0
	.section	.AMDGPU.csdata,"",@progbits
; Kernel info:
; codeLenInByte = 4620
; TotalNumSgprs: 26
; NumVgprs: 102
; ScratchSize: 0
; MemoryBound: 0
; FloatMode: 240
; IeeeMode: 1
; LDSByteSize: 1024 bytes/workgroup (compile time only)
; SGPRBlocks: 0
; VGPRBlocks: 6
; NumSGPRsForWavesPerEU: 26
; NumVGPRsForWavesPerEU: 102
; NamedBarCnt: 0
; Occupancy: 9
; WaveLimiterHint : 1
; COMPUTE_PGM_RSRC2:SCRATCH_EN: 0
; COMPUTE_PGM_RSRC2:USER_SGPR: 2
; COMPUTE_PGM_RSRC2:TRAP_HANDLER: 0
; COMPUTE_PGM_RSRC2:TGID_X_EN: 1
; COMPUTE_PGM_RSRC2:TGID_Y_EN: 0
; COMPUTE_PGM_RSRC2:TGID_Z_EN: 0
; COMPUTE_PGM_RSRC2:TIDIG_COMP_CNT: 0
	.section	.text._ZL12rwkv_wkv_f32ILi128EEviiiiPKfS1_S1_S1_S1_S1_Pf,"axG",@progbits,_ZL12rwkv_wkv_f32ILi128EEviiiiPKfS1_S1_S1_S1_S1_Pf,comdat
	.globl	_ZL12rwkv_wkv_f32ILi128EEviiiiPKfS1_S1_S1_S1_S1_Pf ; -- Begin function _ZL12rwkv_wkv_f32ILi128EEviiiiPKfS1_S1_S1_S1_S1_Pf
	.p2align	8
	.type	_ZL12rwkv_wkv_f32ILi128EEviiiiPKfS1_S1_S1_S1_S1_Pf,@function
_ZL12rwkv_wkv_f32ILi128EEviiiiPKfS1_S1_S1_S1_S1_Pf: ; @_ZL12rwkv_wkv_f32ILi128EEviiiiPKfS1_S1_S1_S1_S1_Pf
; %bb.0:
	s_clause 0x2
	s_load_b128 s[20:23], s[0:1], 0x0
	s_load_b256 s[12:19], s[0:1], 0x10
	s_load_b256 s[4:11], s[0:1], 0x30
	s_wait_xcnt 0x0
	s_bfe_u32 s1, ttmp6, 0x4000c
	s_and_b32 s0, ttmp6, 15
	s_add_co_i32 s1, s1, 1
	s_mov_b32 s2, 0
	s_mul_i32 s1, ttmp9, s1
	s_delay_alu instid0(SALU_CYCLE_1) | instskip(SKIP_1) | instid1(SALU_CYCLE_1)
	s_add_co_i32 s0, s0, s1
	s_getreg_b32 s1, hwreg(HW_REG_IB_STS2, 6, 4)
	s_cmp_eq_u32 s1, 0
	s_cselect_b32 s1, ttmp9, s0
	s_delay_alu instid0(SALU_CYCLE_1)
	s_abs_i32 s3, s1
	s_wait_kmcnt 0x0
	s_abs_i32 s10, s23
	s_xor_b32 s0, s1, s23
	s_cvt_f32_u32 s11, s10
	s_sub_co_i32 s24, 0, s10
	s_ashr_i32 s0, s0, 31
	s_delay_alu instid0(SALU_CYCLE_1) | instskip(SKIP_1) | instid1(TRANS32_DEP_1)
	v_rcp_iflag_f32_e32 v1, s11
	v_nop
	v_readfirstlane_b32 s11, v1
	s_mul_f32 s11, s11, 0x4f7ffffe
	s_delay_alu instid0(SALU_CYCLE_3) | instskip(NEXT) | instid1(SALU_CYCLE_3)
	s_cvt_u32_f32 s11, s11
	s_mul_i32 s24, s24, s11
	s_delay_alu instid0(SALU_CYCLE_1) | instskip(NEXT) | instid1(SALU_CYCLE_1)
	s_mul_hi_u32 s24, s11, s24
	s_add_co_i32 s11, s11, s24
	s_delay_alu instid0(SALU_CYCLE_1) | instskip(NEXT) | instid1(SALU_CYCLE_1)
	s_mul_hi_u32 s11, s3, s11
	s_mul_i32 s24, s11, s10
	s_delay_alu instid0(SALU_CYCLE_1)
	s_sub_co_i32 s3, s3, s24
	s_add_co_i32 s24, s11, 1
	s_sub_co_i32 s25, s3, s10
	s_cmp_ge_u32 s3, s10
	s_cselect_b32 s11, s24, s11
	s_cselect_b32 s3, s25, s3
	s_add_co_i32 s24, s11, 1
	s_cmp_ge_u32 s3, s10
	s_cselect_b32 s3, s24, s11
	s_delay_alu instid0(SALU_CYCLE_1) | instskip(NEXT) | instid1(SALU_CYCLE_1)
	s_xor_b32 s3, s3, s0
	s_sub_co_i32 s0, s3, s0
	s_delay_alu instid0(SALU_CYCLE_1) | instskip(NEXT) | instid1(SALU_CYCLE_1)
	s_mul_i32 s3, s0, s23
	s_sub_co_i32 s1, s1, s3
	s_mul_i32 s3, s22, s0
	s_lshl_b32 s10, s1, 14
	s_lshl_b32 s3, s3, 7
	s_delay_alu instid0(SALU_CYCLE_1)
	v_add3_u32 v3, s10, s3, v0
	s_xor_b32 s3, s21, s20
	s_clause 0x1
	global_load_b32 v4, v3, s[6:7] scale_offset
	global_load_b32 v5, v3, s[6:7] offset:512 scale_offset
	s_ashr_i32 s3, s3, 31
	s_wait_loadcnt 0x0
	scratch_store_b64 off, v[4:5], off offset:32 ; 8-byte Folded Spill
	s_clause 0x1
	global_load_b32 v4, v3, s[6:7] offset:1024 scale_offset
	global_load_b32 v5, v3, s[6:7] offset:1536 scale_offset
	s_wait_loadcnt 0x0
	scratch_store_b64 off, v[4:5], off offset:24 ; 8-byte Folded Spill
	s_clause 0x3e
	global_load_b32 v20, v3, s[6:7] offset:2048 scale_offset
	global_load_b32 v21, v3, s[6:7] offset:2560 scale_offset
	;; [unrolled: 1-line block ×63, first 2 shown]
	s_clause 0x32
	global_load_b32 v81, v3, s[6:7] offset:34304 scale_offset
	global_load_b32 v78, v3, s[6:7] offset:34816 scale_offset
	;; [unrolled: 1-line block ×51, first 2 shown]
	s_wait_loadcnt 0x0
	scratch_store_b64 off, v[4:5], off offset:8 ; 8-byte Folded Spill
	s_clause 0x1
	global_load_b32 v4, v3, s[6:7] offset:60416 scale_offset
	global_load_b32 v5, v3, s[6:7] offset:60928 scale_offset
	s_wait_loadcnt 0x0
	scratch_store_b64 off, v[4:5], off offset:40 ; 8-byte Folded Spill
	s_clause 0x5
	global_load_b32 v124, v3, s[6:7] offset:61440 scale_offset
	global_load_b32 v125, v3, s[6:7] offset:61952 scale_offset
	;; [unrolled: 1-line block ×6, first 2 shown]
	s_wait_loadcnt 0x0
	scratch_store_b64 off, v[4:5], off offset:16 ; 8-byte Folded Spill
	s_clause 0x1
	global_load_b32 v8, v3, s[6:7] offset:64512 scale_offset
	global_load_b32 v9, v3, s[6:7] offset:65024 scale_offset
	s_wait_xcnt 0x0
	s_abs_i32 s7, s20
	s_wait_loadcnt 0x0
	s_wait_storecnt 0x0
	s_cvt_f32_u32 s10, s7
	s_barrier_signal -1
	s_barrier_wait -1
	s_delay_alu instid0(SALU_CYCLE_1) | instskip(SKIP_3) | instid1(TRANS32_DEP_1)
	v_rcp_iflag_f32_e32 v1, s10
	s_sub_co_i32 s11, 0, s7
	s_abs_i32 s6, s21
	v_lshlrev_b32_e32 v4, 2, v0
	v_readfirstlane_b32 s10, v1
	v_lshl_add_u32 v1, s1, 7, v0
	s_mul_f32 s10, s10, 0x4f7ffffe
	global_load_b32 v2, v1, s[18:19] scale_offset
	s_cvt_u32_f32 s10, s10
	s_delay_alu instid0(SALU_CYCLE_3) | instskip(NEXT) | instid1(SALU_CYCLE_1)
	s_mul_i32 s11, s11, s10
	s_mul_hi_u32 s11, s10, s11
	s_delay_alu instid0(SALU_CYCLE_1) | instskip(NEXT) | instid1(SALU_CYCLE_1)
	s_add_co_i32 s10, s10, s11
	s_mul_hi_u32 s10, s6, s10
	s_delay_alu instid0(SALU_CYCLE_1) | instskip(NEXT) | instid1(SALU_CYCLE_1)
	s_mul_i32 s11, s10, s7
	s_sub_co_i32 s6, s6, s11
	s_add_co_i32 s11, s10, 1
	s_sub_co_i32 s20, s6, s7
	s_cmp_ge_u32 s6, s7
	s_cselect_b32 s10, s11, s10
	s_cselect_b32 s6, s20, s6
	s_add_co_i32 s11, s10, 1
	s_cmp_ge_u32 s6, s7
	s_cselect_b32 s6, s11, s10
	s_delay_alu instid0(SALU_CYCLE_1) | instskip(NEXT) | instid1(SALU_CYCLE_1)
	s_xor_b32 s6, s6, s3
	s_sub_co_i32 s3, s6, s3
	s_delay_alu instid0(SALU_CYCLE_1)
	s_mul_i32 s3, s3, s22
	s_wait_loadcnt 0x0
	ds_store_b32 v4, v2 offset:1536
	v_mad_u32 v2, s3, s0, v1
	s_add_co_i32 s0, s0, 1
	s_wait_dscnt 0x0
	v_mad_u32 v0, s3, s0, v1
	s_mov_b32 s3, exec_lo
	s_barrier_signal -1
	s_barrier_wait -1
	s_delay_alu instid0(VALU_DEP_1)
	v_cmpx_lt_i32_e64 v2, v0
	s_cbranch_execz .LBB1_4
; %bb.1:
	v_mov_b32_e32 v36, v2
	scratch_store_b32 off, v3, off offset:176 ; 4-byte Folded Spill
	s_wait_xcnt 0x0
	v_ashrrev_i32_e32 v3, 31, v2
	s_ashr_i32 s23, s22, 31
	s_delay_alu instid0(SALU_CYCLE_1)
	s_lshl_b64 s[0:1], s[22:23], 2
	scratch_store_b64 off, v[36:37], off offset:88 ; 8-byte Folded Spill
	s_wait_xcnt 0x0
	v_mov_b32_e32 v36, 0
	v_lshlrev_b64_e32 v[2:3], 2, v[2:3]
	s_clause 0x6
	scratch_store_b64 off, v[6:7], off offset:64
	scratch_store_b64 off, v[10:11], off offset:48
	;; [unrolled: 1-line block ×5, first 2 shown]
	scratch_store_b32 off, v4, off offset:168
	scratch_store_b32 off, v0, off offset:172
.LBB1_2:                                ; =>This Inner Loop Header: Depth=1
	s_wait_xcnt 0x0
	v_add_nc_u64_e32 v[0:1], s[12:13], v[2:3]
	s_clause 0x9
	scratch_store_b64 off, v[124:125], off offset:160
	scratch_store_b64 off, v[16:17], off offset:152
	scratch_store_b64 off, v[2:3], off
	scratch_store_b64 off, v[22:23], off offset:144
	scratch_store_b64 off, v[28:29], off offset:136
	;; [unrolled: 1-line block ×7, first 2 shown]
	s_wait_storecnt 0x0
	s_barrier_signal -1
	s_barrier_wait -1
	s_wait_xcnt 0x1
	v_mov_b64_e32 v[76:77], v[66:67]
	global_load_b32 v0, v[0:1], off
	v_mov_b64_e32 v[66:67], v[56:57]
	v_mov_b64_e32 v[56:57], v[46:47]
	;; [unrolled: 1-line block ×9, first 2 shown]
	s_delay_alu instid0(VALU_DEP_1) | instskip(NEXT) | instid1(VALU_DEP_3)
	v_mov_b64_e32 v[54:55], v[64:65]
	v_mov_b64_e32 v[64:65], v[74:75]
	;; [unrolled: 1-line block ×10, first 2 shown]
	s_wait_loadcnt 0x0
	ds_store_b32 v4, v0
	s_wait_xcnt 0x0
	v_add_nc_u64_e32 v[0:1], s[16:17], v[2:3]
	global_load_b32 v0, v[0:1], off
	s_wait_xcnt 0x0
	v_add_nc_u32_e32 v1, 0x200, v4
	s_wait_loadcnt 0x0
	ds_store_b32 v1, v0
	v_add_nc_u64_e32 v[0:1], s[4:5], v[2:3]
	global_load_b32 v0, v[0:1], off
	s_wait_xcnt 0x0
	v_add_nc_u32_e32 v1, 0x400, v4
	s_wait_loadcnt 0x0
	ds_store_b32 v1, v0
	v_add_nc_u64_e32 v[0:1], s[14:15], v[2:3]
	s_wait_dscnt 0x0
	s_barrier_signal -1
	s_barrier_wait -1
	ds_load_b128 v[12:15], v36 offset:512
	global_load_b32 v20, v[0:1], off
	ds_load_b128 v[22:25], v36 offset:1536
	ds_load_b128 v[26:29], v36
	ds_load_b128 v[8:11], v36 offset:16
	ds_load_b128 v[4:7], v36 offset:32
	;; [unrolled: 1-line block ×3, first 2 shown]
	scratch_load_b64 v[16:17], off, off offset:32 ; 8-byte Folded Reload
	s_wait_xcnt 0x1
	v_mov_b64_e32 v[0:1], v[102:103]
	v_mov_b64_e32 v[102:103], v[92:93]
	;; [unrolled: 1-line block ×8, first 2 shown]
	ds_load_b128 v[30:33], v36 offset:1024
	s_wait_loadcnt_dscnt 0x104
	v_pk_mul_f32 v[26:27], v[20:21], v[26:27] op_sel_hi:[0,1]
	s_wait_loadcnt 0x0
	v_mov_b32_e32 v21, v16
	s_delay_alu instid0(VALU_DEP_1) | instskip(NEXT) | instid1(VALU_DEP_1)
	v_fmac_f32_e32 v21, v26, v22
	v_fma_f32 v21, v12, v21, 0
	v_mov_b32_e32 v12, v17
	s_wait_dscnt 0x0
	v_pk_fma_f32 v[16:17], v[16:17], v[30:31], v[26:27]
	s_delay_alu instid0(VALU_DEP_2) | instskip(SKIP_4) | instid1(VALU_DEP_1)
	v_fmac_f32_e32 v12, v27, v23
	s_clause 0x1
	scratch_store_b64 off, v[16:17], off offset:32
	scratch_load_b64 v[16:17], off, off offset:24
	v_fmac_f32_e32 v21, v13, v12
	v_pk_mul_f32 v[12:13], v[20:21], v[28:29] op_sel_hi:[0,1]
	s_wait_loadcnt 0x0
	v_mov_b32_e32 v22, v16
	s_delay_alu instid0(VALU_DEP_1) | instskip(NEXT) | instid1(VALU_DEP_1)
	v_fmac_f32_e32 v22, v12, v24
	v_dual_fmac_f32 v21, v14, v22 :: v_dual_mov_b32 v14, v17
	v_pk_fma_f32 v[16:17], v[16:17], v[32:33], v[12:13]
	v_mov_b64_e32 v[32:33], v[42:43]
	v_mov_b64_e32 v[42:43], v[52:53]
	;; [unrolled: 1-line block ×3, first 2 shown]
	v_fmac_f32_e32 v14, v13, v25
	scratch_store_b64 off, v[16:17], off offset:24 ; 8-byte Folded Spill
	v_mov_b64_e32 v[62:63], v[72:73]
	v_mov_b64_e32 v[72:73], v[82:83]
	;; [unrolled: 1-line block ×3, first 2 shown]
	v_fmac_f32_e32 v21, v15, v14
	v_mov_b64_e32 v[92:93], v[102:103]
	v_mov_b64_e32 v[102:103], v[0:1]
	ds_load_b128 v[12:15], v36 offset:528
	ds_load_b128 v[22:25], v36 offset:1552
	scratch_load_b64 v[0:1], off, off offset:80 ; 8-byte Folded Reload
	s_wait_loadcnt 0x0
	v_mov_b32_e32 v26, v0
	v_pk_mul_f32 v[8:9], v[20:21], v[8:9] op_sel_hi:[0,1]
	s_wait_dscnt 0x0
	s_delay_alu instid0(VALU_DEP_1) | instskip(NEXT) | instid1(VALU_DEP_1)
	v_fmac_f32_e32 v26, v8, v22
	v_fmac_f32_e32 v21, v12, v26
	ds_load_b128 v[26:29], v36 offset:1040
	v_mov_b32_e32 v12, v1
	s_delay_alu instid0(VALU_DEP_1)
	v_fmac_f32_e32 v12, v9, v23
	s_wait_dscnt 0x0
	v_pk_fma_f32 v[0:1], v[0:1], v[26:27], v[8:9]
	s_clause 0x1
	scratch_store_b64 off, v[0:1], off offset:80
	scratch_load_b64 v[0:1], off, off offset:56
	v_fmac_f32_e32 v21, v13, v12
	s_delay_alu instid0(VALU_DEP_1) | instskip(SKIP_2) | instid1(VALU_DEP_1)
	v_pk_mul_f32 v[8:9], v[20:21], v[10:11] op_sel_hi:[0,1]
	s_wait_loadcnt 0x0
	v_mov_b32_e32 v10, v0
	v_fmac_f32_e32 v10, v8, v24
	s_delay_alu instid0(VALU_DEP_1) | instskip(SKIP_1) | instid1(VALU_DEP_2)
	v_dual_fmac_f32 v21, v14, v10 :: v_dual_mov_b32 v10, v1
	v_pk_fma_f32 v[0:1], v[0:1], v[28:29], v[8:9]
	v_fmac_f32_e32 v10, v9, v25
	scratch_store_b64 off, v[0:1], off offset:56 ; 8-byte Folded Spill
	v_fmac_f32_e32 v21, v15, v10
	ds_load_b128 v[8:11], v36 offset:544
	ds_load_b128 v[12:15], v36 offset:1568
	scratch_load_b64 v[0:1], off, off offset:72 ; 8-byte Folded Reload
	v_pk_mul_f32 v[4:5], v[20:21], v[4:5] op_sel_hi:[0,1]
	s_wait_loadcnt 0x0
	v_mov_b32_e32 v22, v0
	s_wait_dscnt 0x0
	s_delay_alu instid0(VALU_DEP_1) | instskip(NEXT) | instid1(VALU_DEP_1)
	v_fmac_f32_e32 v22, v4, v12
	v_fmac_f32_e32 v21, v8, v22
	ds_load_b128 v[22:25], v36 offset:1056
	v_mov_b32_e32 v8, v1
	s_delay_alu instid0(VALU_DEP_1) | instskip(NEXT) | instid1(VALU_DEP_1)
	v_fmac_f32_e32 v8, v5, v13
	v_fmac_f32_e32 v21, v9, v8
	s_wait_dscnt 0x0
	v_pk_fma_f32 v[0:1], v[0:1], v[22:23], v[4:5]
	s_delay_alu instid0(VALU_DEP_2)
	v_pk_mul_f32 v[4:5], v[20:21], v[6:7] op_sel_hi:[0,1]
	s_clause 0x1
	scratch_store_b64 off, v[0:1], off offset:72
	scratch_load_b64 v[0:1], off, off offset:48
	s_wait_loadcnt 0x0
	v_mov_b32_e32 v6, v0
	s_delay_alu instid0(VALU_DEP_1) | instskip(NEXT) | instid1(VALU_DEP_1)
	v_fmac_f32_e32 v6, v4, v14
	v_dual_fmac_f32 v21, v10, v6 :: v_dual_mov_b32 v6, v1
	v_pk_fma_f32 v[0:1], v[0:1], v[24:25], v[4:5]
	s_delay_alu instid0(VALU_DEP_2)
	v_fmac_f32_e32 v6, v5, v15
	s_clause 0x7
	scratch_store_b64 off, v[0:1], off offset:48
	scratch_load_b64 v[24:25], off, off offset:112 th:TH_LOAD_LU
	scratch_load_b64 v[76:77], off, off offset:104 th:TH_LOAD_LU
	;; [unrolled: 1-line block ×7, first 2 shown]
	v_fmac_f32_e32 v21, v11, v6
	ds_load_b128 v[4:7], v36 offset:560
	ds_load_b128 v[8:11], v36 offset:1584
	scratch_load_b64 v[2:3], off, off offset:64 ; 8-byte Folded Reload
	s_wait_xcnt 0x8
	v_pk_mul_f32 v[0:1], v[20:21], v[124:125] op_sel_hi:[0,1]
	s_wait_loadcnt 0x0
	v_mov_b32_e32 v12, v2
	s_wait_dscnt 0x0
	s_delay_alu instid0(VALU_DEP_1) | instskip(NEXT) | instid1(VALU_DEP_1)
	v_fmac_f32_e32 v12, v0, v8
	v_dual_fmac_f32 v21, v4, v12 :: v_dual_mov_b32 v4, v3
	ds_load_b128 v[12:15], v36 offset:1072
	v_fmac_f32_e32 v4, v1, v9
	s_delay_alu instid0(VALU_DEP_1)
	v_fmac_f32_e32 v21, v5, v4
	s_wait_dscnt 0x0
	v_pk_fma_f32 v[2:3], v[2:3], v[12:13], v[0:1]
	v_mov_b32_e32 v12, v66
	scratch_store_b64 off, v[2:3], off offset:64 ; 8-byte Folded Spill
	s_wait_xcnt 0x0
	v_mov_b32_e32 v2, v22
	v_pk_mul_f32 v[0:1], v[20:21], v[126:127] op_sel_hi:[0,1]
	s_delay_alu instid0(VALU_DEP_1) | instskip(NEXT) | instid1(VALU_DEP_1)
	v_fmac_f32_e32 v2, v0, v10
	v_dual_fmac_f32 v21, v6, v2 :: v_dual_mov_b32 v2, v23
	s_delay_alu instid0(VALU_DEP_3) | instskip(NEXT) | instid1(VALU_DEP_2)
	v_pk_fma_f32 v[22:23], v[22:23], v[14:15], v[0:1]
	v_fmac_f32_e32 v2, v1, v11
	s_delay_alu instid0(VALU_DEP_1)
	v_fmac_f32_e32 v21, v7, v2
	ds_load_b128 v[0:3], v36 offset:576
	ds_load_b128 v[4:7], v36 offset:1600
	;; [unrolled: 1-line block ×3, first 2 shown]
	s_wait_dscnt 0x0
	v_pk_mul_f32 v[8:9], v[20:21], v[8:9] op_sel_hi:[0,1]
	s_delay_alu instid0(VALU_DEP_1) | instskip(SKIP_1) | instid1(VALU_DEP_2)
	v_fmac_f32_e32 v12, v8, v4
	v_mov_b32_e32 v4, v56
	v_dual_fmac_f32 v21, v0, v12 :: v_dual_mov_b32 v0, v67
	ds_load_b128 v[12:15], v36 offset:1088
	v_fmac_f32_e32 v0, v9, v5
	s_delay_alu instid0(VALU_DEP_1) | instskip(NEXT) | instid1(VALU_DEP_1)
	v_fmac_f32_e32 v21, v1, v0
	v_pk_mul_f32 v[0:1], v[20:21], v[10:11] op_sel_hi:[0,1]
	s_delay_alu instid0(VALU_DEP_1) | instskip(SKIP_3) | instid1(VALU_DEP_3)
	v_fmac_f32_e32 v4, v0, v6
	s_wait_dscnt 0x0
	v_pk_fma_f32 v[66:67], v[66:67], v[12:13], v[8:9]
	v_mov_b32_e32 v12, v46
	v_dual_fmac_f32 v21, v2, v4 :: v_dual_mov_b32 v2, v57
	v_pk_fma_f32 v[56:57], v[56:57], v[14:15], v[0:1]
	s_delay_alu instid0(VALU_DEP_2) | instskip(NEXT) | instid1(VALU_DEP_1)
	v_fmac_f32_e32 v2, v1, v7
	v_fmac_f32_e32 v21, v3, v2
	ds_load_b128 v[0:3], v36 offset:592
	ds_load_b128 v[4:7], v36 offset:1616
	ds_load_b128 v[8:11], v36 offset:80
	s_wait_dscnt 0x0
	v_pk_mul_f32 v[8:9], v[20:21], v[8:9] op_sel_hi:[0,1]
	s_delay_alu instid0(VALU_DEP_1) | instskip(NEXT) | instid1(VALU_DEP_1)
	v_dual_fmac_f32 v12, v8, v4 :: v_dual_mov_b32 v4, v122
	v_dual_fmac_f32 v21, v0, v12 :: v_dual_mov_b32 v0, v47
	ds_load_b128 v[12:15], v36 offset:1104
	v_fmac_f32_e32 v0, v9, v5
	s_delay_alu instid0(VALU_DEP_1) | instskip(NEXT) | instid1(VALU_DEP_1)
	v_fmac_f32_e32 v21, v1, v0
	v_pk_mul_f32 v[0:1], v[20:21], v[10:11] op_sel_hi:[0,1]
	s_delay_alu instid0(VALU_DEP_1) | instskip(SKIP_2) | instid1(VALU_DEP_2)
	v_fmac_f32_e32 v4, v0, v6
	s_wait_dscnt 0x0
	v_pk_fma_f32 v[46:47], v[46:47], v[12:13], v[8:9]
	v_dual_mov_b32 v12, v120 :: v_dual_fmac_f32 v21, v2, v4
	v_mov_b32_e32 v2, v123
	v_pk_fma_f32 v[122:123], v[122:123], v[14:15], v[0:1]
	s_delay_alu instid0(VALU_DEP_2) | instskip(NEXT) | instid1(VALU_DEP_1)
	v_fmac_f32_e32 v2, v1, v7
	v_fmac_f32_e32 v21, v3, v2
	ds_load_b128 v[0:3], v36 offset:608
	ds_load_b128 v[4:7], v36 offset:1632
	;; [unrolled: 1-line block ×3, first 2 shown]
	s_wait_dscnt 0x0
	v_pk_mul_f32 v[8:9], v[20:21], v[8:9] op_sel_hi:[0,1]
	s_delay_alu instid0(VALU_DEP_1) | instskip(NEXT) | instid1(VALU_DEP_1)
	v_dual_fmac_f32 v12, v8, v4 :: v_dual_mov_b32 v4, v18
	v_dual_fmac_f32 v21, v0, v12 :: v_dual_mov_b32 v0, v121
	ds_load_b128 v[12:15], v36 offset:1120
	v_fmac_f32_e32 v0, v9, v5
	s_delay_alu instid0(VALU_DEP_1) | instskip(NEXT) | instid1(VALU_DEP_1)
	v_fmac_f32_e32 v21, v1, v0
	v_pk_mul_f32 v[0:1], v[20:21], v[10:11] op_sel_hi:[0,1]
	s_delay_alu instid0(VALU_DEP_1) | instskip(SKIP_3) | instid1(VALU_DEP_3)
	v_fmac_f32_e32 v4, v0, v6
	s_wait_dscnt 0x0
	v_pk_fma_f32 v[120:121], v[120:121], v[12:13], v[8:9]
	v_mov_b32_e32 v12, v118
	v_dual_fmac_f32 v21, v2, v4 :: v_dual_mov_b32 v2, v19
	v_pk_fma_f32 v[18:19], v[18:19], v[14:15], v[0:1]
	s_delay_alu instid0(VALU_DEP_2) | instskip(NEXT) | instid1(VALU_DEP_1)
	v_fmac_f32_e32 v2, v1, v7
	v_fmac_f32_e32 v21, v3, v2
	ds_load_b128 v[0:3], v36 offset:624
	ds_load_b128 v[4:7], v36 offset:1648
	ds_load_b128 v[8:11], v36 offset:112
	s_wait_dscnt 0x0
	v_pk_mul_f32 v[8:9], v[20:21], v[8:9] op_sel_hi:[0,1]
	s_delay_alu instid0(VALU_DEP_1) | instskip(SKIP_1) | instid1(VALU_DEP_2)
	v_fmac_f32_e32 v12, v8, v4
	v_mov_b32_e32 v4, v116
	v_dual_fmac_f32 v21, v0, v12 :: v_dual_mov_b32 v0, v119
	ds_load_b128 v[12:15], v36 offset:1136
	v_fmac_f32_e32 v0, v9, v5
	s_delay_alu instid0(VALU_DEP_1) | instskip(NEXT) | instid1(VALU_DEP_1)
	v_fmac_f32_e32 v21, v1, v0
	v_pk_mul_f32 v[0:1], v[20:21], v[10:11] op_sel_hi:[0,1]
	s_delay_alu instid0(VALU_DEP_1) | instskip(SKIP_3) | instid1(VALU_DEP_3)
	v_fmac_f32_e32 v4, v0, v6
	s_wait_dscnt 0x0
	v_pk_fma_f32 v[118:119], v[118:119], v[12:13], v[8:9]
	v_mov_b32_e32 v12, v114
	v_dual_fmac_f32 v21, v2, v4 :: v_dual_mov_b32 v2, v117
	v_pk_fma_f32 v[116:117], v[116:117], v[14:15], v[0:1]
	s_delay_alu instid0(VALU_DEP_2) | instskip(NEXT) | instid1(VALU_DEP_1)
	v_fmac_f32_e32 v2, v1, v7
	v_fmac_f32_e32 v21, v3, v2
	ds_load_b128 v[0:3], v36 offset:640
	ds_load_b128 v[4:7], v36 offset:1664
	ds_load_b128 v[8:11], v36 offset:128
	s_wait_dscnt 0x0
	v_pk_mul_f32 v[8:9], v[20:21], v[8:9] op_sel_hi:[0,1]
	s_delay_alu instid0(VALU_DEP_1) | instskip(SKIP_1) | instid1(VALU_DEP_2)
	v_fmac_f32_e32 v12, v8, v4
	v_mov_b32_e32 v4, v112
	v_dual_fmac_f32 v21, v0, v12 :: v_dual_mov_b32 v0, v115
	ds_load_b128 v[12:15], v36 offset:1152
	v_fmac_f32_e32 v0, v9, v5
	s_delay_alu instid0(VALU_DEP_1) | instskip(NEXT) | instid1(VALU_DEP_1)
	v_fmac_f32_e32 v21, v1, v0
	v_pk_mul_f32 v[0:1], v[20:21], v[10:11] op_sel_hi:[0,1]
	s_delay_alu instid0(VALU_DEP_1) | instskip(SKIP_3) | instid1(VALU_DEP_3)
	v_fmac_f32_e32 v4, v0, v6
	s_wait_dscnt 0x0
	v_pk_fma_f32 v[114:115], v[114:115], v[12:13], v[8:9]
	v_mov_b32_e32 v12, v110
	v_dual_fmac_f32 v21, v2, v4 :: v_dual_mov_b32 v2, v113
	v_pk_fma_f32 v[112:113], v[112:113], v[14:15], v[0:1]
	s_delay_alu instid0(VALU_DEP_2) | instskip(NEXT) | instid1(VALU_DEP_1)
	v_fmac_f32_e32 v2, v1, v7
	v_fmac_f32_e32 v21, v3, v2
	ds_load_b128 v[0:3], v36 offset:656
	ds_load_b128 v[4:7], v36 offset:1680
	ds_load_b128 v[8:11], v36 offset:144
	s_wait_dscnt 0x0
	v_pk_mul_f32 v[8:9], v[20:21], v[8:9] op_sel_hi:[0,1]
	s_delay_alu instid0(VALU_DEP_1) | instskip(SKIP_1) | instid1(VALU_DEP_2)
	v_fmac_f32_e32 v12, v8, v4
	v_mov_b32_e32 v4, v108
	v_dual_fmac_f32 v21, v0, v12 :: v_dual_mov_b32 v0, v111
	ds_load_b128 v[12:15], v36 offset:1168
	v_fmac_f32_e32 v0, v9, v5
	s_delay_alu instid0(VALU_DEP_1) | instskip(NEXT) | instid1(VALU_DEP_1)
	v_fmac_f32_e32 v21, v1, v0
	v_pk_mul_f32 v[0:1], v[20:21], v[10:11] op_sel_hi:[0,1]
	s_delay_alu instid0(VALU_DEP_1) | instskip(SKIP_3) | instid1(VALU_DEP_3)
	v_fmac_f32_e32 v4, v0, v6
	s_wait_dscnt 0x0
	v_pk_fma_f32 v[110:111], v[110:111], v[12:13], v[8:9]
	v_mov_b32_e32 v12, v106
	v_dual_fmac_f32 v21, v2, v4 :: v_dual_mov_b32 v2, v109
	v_pk_fma_f32 v[108:109], v[108:109], v[14:15], v[0:1]
	s_delay_alu instid0(VALU_DEP_2) | instskip(NEXT) | instid1(VALU_DEP_1)
	v_fmac_f32_e32 v2, v1, v7
	v_fmac_f32_e32 v21, v3, v2
	ds_load_b128 v[0:3], v36 offset:672
	ds_load_b128 v[4:7], v36 offset:1696
	ds_load_b128 v[8:11], v36 offset:160
	s_wait_dscnt 0x0
	v_pk_mul_f32 v[8:9], v[20:21], v[8:9] op_sel_hi:[0,1]
	s_delay_alu instid0(VALU_DEP_1) | instskip(SKIP_1) | instid1(VALU_DEP_2)
	v_fmac_f32_e32 v12, v8, v4
	v_mov_b32_e32 v4, v104
	v_dual_fmac_f32 v21, v0, v12 :: v_dual_mov_b32 v0, v107
	ds_load_b128 v[12:15], v36 offset:1184
	v_fmac_f32_e32 v0, v9, v5
	s_delay_alu instid0(VALU_DEP_1) | instskip(NEXT) | instid1(VALU_DEP_1)
	v_fmac_f32_e32 v21, v1, v0
	v_pk_mul_f32 v[0:1], v[20:21], v[10:11] op_sel_hi:[0,1]
	s_delay_alu instid0(VALU_DEP_1) | instskip(SKIP_3) | instid1(VALU_DEP_3)
	v_fmac_f32_e32 v4, v0, v6
	s_wait_dscnt 0x0
	v_pk_fma_f32 v[106:107], v[106:107], v[12:13], v[8:9]
	v_mov_b32_e32 v12, v102
	v_dual_fmac_f32 v21, v2, v4 :: v_dual_mov_b32 v2, v105
	v_pk_fma_f32 v[104:105], v[104:105], v[14:15], v[0:1]
	s_delay_alu instid0(VALU_DEP_2) | instskip(NEXT) | instid1(VALU_DEP_1)
	v_fmac_f32_e32 v2, v1, v7
	v_fmac_f32_e32 v21, v3, v2
	ds_load_b128 v[0:3], v36 offset:688
	ds_load_b128 v[4:7], v36 offset:1712
	ds_load_b128 v[8:11], v36 offset:176
	s_wait_dscnt 0x0
	v_pk_mul_f32 v[8:9], v[20:21], v[8:9] op_sel_hi:[0,1]
	s_delay_alu instid0(VALU_DEP_1) | instskip(SKIP_1) | instid1(VALU_DEP_2)
	v_fmac_f32_e32 v12, v8, v4
	v_mov_b32_e32 v4, v100
	v_dual_fmac_f32 v21, v0, v12 :: v_dual_mov_b32 v0, v103
	ds_load_b128 v[12:15], v36 offset:1200
	v_fmac_f32_e32 v0, v9, v5
	s_delay_alu instid0(VALU_DEP_1) | instskip(NEXT) | instid1(VALU_DEP_1)
	v_fmac_f32_e32 v21, v1, v0
	v_pk_mul_f32 v[0:1], v[20:21], v[10:11] op_sel_hi:[0,1]
	s_delay_alu instid0(VALU_DEP_1) | instskip(SKIP_3) | instid1(VALU_DEP_3)
	v_fmac_f32_e32 v4, v0, v6
	s_wait_dscnt 0x0
	v_pk_fma_f32 v[102:103], v[102:103], v[12:13], v[8:9]
	v_mov_b32_e32 v12, v98
	v_dual_fmac_f32 v21, v2, v4 :: v_dual_mov_b32 v2, v101
	v_pk_fma_f32 v[100:101], v[100:101], v[14:15], v[0:1]
	s_delay_alu instid0(VALU_DEP_2) | instskip(NEXT) | instid1(VALU_DEP_1)
	v_fmac_f32_e32 v2, v1, v7
	v_fmac_f32_e32 v21, v3, v2
	ds_load_b128 v[0:3], v36 offset:704
	ds_load_b128 v[4:7], v36 offset:1728
	ds_load_b128 v[8:11], v36 offset:192
	s_wait_dscnt 0x0
	v_pk_mul_f32 v[8:9], v[20:21], v[8:9] op_sel_hi:[0,1]
	s_delay_alu instid0(VALU_DEP_1) | instskip(SKIP_1) | instid1(VALU_DEP_2)
	v_fmac_f32_e32 v12, v8, v4
	v_mov_b32_e32 v4, v96
	v_dual_fmac_f32 v21, v0, v12 :: v_dual_mov_b32 v0, v99
	ds_load_b128 v[12:15], v36 offset:1216
	v_fmac_f32_e32 v0, v9, v5
	s_delay_alu instid0(VALU_DEP_1) | instskip(NEXT) | instid1(VALU_DEP_1)
	v_fmac_f32_e32 v21, v1, v0
	v_pk_mul_f32 v[0:1], v[20:21], v[10:11] op_sel_hi:[0,1]
	s_delay_alu instid0(VALU_DEP_1) | instskip(SKIP_3) | instid1(VALU_DEP_3)
	v_fmac_f32_e32 v4, v0, v6
	s_wait_dscnt 0x0
	v_pk_fma_f32 v[98:99], v[98:99], v[12:13], v[8:9]
	v_mov_b32_e32 v12, v94
	v_dual_fmac_f32 v21, v2, v4 :: v_dual_mov_b32 v2, v97
	v_pk_fma_f32 v[96:97], v[96:97], v[14:15], v[0:1]
	s_delay_alu instid0(VALU_DEP_2) | instskip(NEXT) | instid1(VALU_DEP_1)
	v_fmac_f32_e32 v2, v1, v7
	v_fmac_f32_e32 v21, v3, v2
	ds_load_b128 v[0:3], v36 offset:720
	ds_load_b128 v[4:7], v36 offset:1744
	ds_load_b128 v[8:11], v36 offset:208
	s_wait_dscnt 0x0
	v_pk_mul_f32 v[8:9], v[20:21], v[8:9] op_sel_hi:[0,1]
	s_delay_alu instid0(VALU_DEP_1) | instskip(SKIP_1) | instid1(VALU_DEP_2)
	v_fmac_f32_e32 v12, v8, v4
	v_mov_b32_e32 v4, v92
	v_dual_fmac_f32 v21, v0, v12 :: v_dual_mov_b32 v0, v95
	ds_load_b128 v[12:15], v36 offset:1232
	v_fmac_f32_e32 v0, v9, v5
	s_delay_alu instid0(VALU_DEP_1) | instskip(NEXT) | instid1(VALU_DEP_1)
	v_fmac_f32_e32 v21, v1, v0
	v_pk_mul_f32 v[0:1], v[20:21], v[10:11] op_sel_hi:[0,1]
	s_delay_alu instid0(VALU_DEP_1) | instskip(SKIP_3) | instid1(VALU_DEP_3)
	v_fmac_f32_e32 v4, v0, v6
	s_wait_dscnt 0x0
	v_pk_fma_f32 v[94:95], v[94:95], v[12:13], v[8:9]
	v_mov_b32_e32 v12, v90
	v_dual_fmac_f32 v21, v2, v4 :: v_dual_mov_b32 v2, v93
	v_pk_fma_f32 v[92:93], v[92:93], v[14:15], v[0:1]
	s_delay_alu instid0(VALU_DEP_2) | instskip(NEXT) | instid1(VALU_DEP_1)
	v_fmac_f32_e32 v2, v1, v7
	v_fmac_f32_e32 v21, v3, v2
	ds_load_b128 v[0:3], v36 offset:736
	ds_load_b128 v[4:7], v36 offset:1760
	ds_load_b128 v[8:11], v36 offset:224
	s_wait_dscnt 0x0
	v_pk_mul_f32 v[8:9], v[20:21], v[8:9] op_sel_hi:[0,1]
	s_delay_alu instid0(VALU_DEP_1) | instskip(SKIP_1) | instid1(VALU_DEP_2)
	v_fmac_f32_e32 v12, v8, v4
	v_mov_b32_e32 v4, v88
	v_dual_fmac_f32 v21, v0, v12 :: v_dual_mov_b32 v0, v91
	ds_load_b128 v[12:15], v36 offset:1248
	v_fmac_f32_e32 v0, v9, v5
	s_delay_alu instid0(VALU_DEP_1) | instskip(NEXT) | instid1(VALU_DEP_1)
	v_fmac_f32_e32 v21, v1, v0
	v_pk_mul_f32 v[0:1], v[20:21], v[10:11] op_sel_hi:[0,1]
	s_delay_alu instid0(VALU_DEP_1) | instskip(SKIP_3) | instid1(VALU_DEP_3)
	v_fmac_f32_e32 v4, v0, v6
	s_wait_dscnt 0x0
	v_pk_fma_f32 v[90:91], v[90:91], v[12:13], v[8:9]
	v_mov_b32_e32 v12, v86
	v_dual_fmac_f32 v21, v2, v4 :: v_dual_mov_b32 v2, v89
	v_pk_fma_f32 v[88:89], v[88:89], v[14:15], v[0:1]
	s_delay_alu instid0(VALU_DEP_2) | instskip(NEXT) | instid1(VALU_DEP_1)
	v_fmac_f32_e32 v2, v1, v7
	v_fmac_f32_e32 v21, v3, v2
	ds_load_b128 v[0:3], v36 offset:752
	ds_load_b128 v[4:7], v36 offset:1776
	ds_load_b128 v[8:11], v36 offset:240
	s_wait_dscnt 0x0
	v_pk_mul_f32 v[8:9], v[20:21], v[8:9] op_sel_hi:[0,1]
	s_delay_alu instid0(VALU_DEP_1) | instskip(SKIP_1) | instid1(VALU_DEP_2)
	v_fmac_f32_e32 v12, v8, v4
	v_mov_b32_e32 v4, v84
	v_dual_fmac_f32 v21, v0, v12 :: v_dual_mov_b32 v0, v87
	ds_load_b128 v[12:15], v36 offset:1264
	v_fmac_f32_e32 v0, v9, v5
	s_delay_alu instid0(VALU_DEP_1) | instskip(NEXT) | instid1(VALU_DEP_1)
	v_fmac_f32_e32 v21, v1, v0
	v_pk_mul_f32 v[0:1], v[20:21], v[10:11] op_sel_hi:[0,1]
	s_delay_alu instid0(VALU_DEP_1) | instskip(SKIP_3) | instid1(VALU_DEP_3)
	v_fmac_f32_e32 v4, v0, v6
	s_wait_dscnt 0x0
	v_pk_fma_f32 v[86:87], v[86:87], v[12:13], v[8:9]
	v_mov_b32_e32 v12, v82
	v_dual_fmac_f32 v21, v2, v4 :: v_dual_mov_b32 v2, v85
	v_pk_fma_f32 v[84:85], v[84:85], v[14:15], v[0:1]
	s_delay_alu instid0(VALU_DEP_2) | instskip(NEXT) | instid1(VALU_DEP_1)
	v_fmac_f32_e32 v2, v1, v7
	v_fmac_f32_e32 v21, v3, v2
	ds_load_b128 v[0:3], v36 offset:768
	ds_load_b128 v[4:7], v36 offset:1792
	ds_load_b128 v[8:11], v36 offset:256
	s_wait_dscnt 0x0
	v_pk_mul_f32 v[8:9], v[20:21], v[8:9] op_sel_hi:[0,1]
	s_delay_alu instid0(VALU_DEP_1) | instskip(SKIP_1) | instid1(VALU_DEP_2)
	v_fmac_f32_e32 v12, v8, v4
	v_mov_b32_e32 v4, v80
	v_dual_fmac_f32 v21, v0, v12 :: v_dual_mov_b32 v0, v83
	ds_load_b128 v[12:15], v36 offset:1280
	v_fmac_f32_e32 v0, v9, v5
	s_delay_alu instid0(VALU_DEP_1) | instskip(NEXT) | instid1(VALU_DEP_1)
	v_fmac_f32_e32 v21, v1, v0
	v_pk_mul_f32 v[0:1], v[20:21], v[10:11] op_sel_hi:[0,1]
	s_delay_alu instid0(VALU_DEP_1) | instskip(SKIP_3) | instid1(VALU_DEP_3)
	v_fmac_f32_e32 v4, v0, v6
	s_wait_dscnt 0x0
	v_pk_fma_f32 v[82:83], v[82:83], v[12:13], v[8:9]
	v_mov_b32_e32 v12, v78
	v_dual_fmac_f32 v21, v2, v4 :: v_dual_mov_b32 v2, v81
	v_pk_fma_f32 v[80:81], v[80:81], v[14:15], v[0:1]
	s_delay_alu instid0(VALU_DEP_2) | instskip(NEXT) | instid1(VALU_DEP_1)
	v_fmac_f32_e32 v2, v1, v7
	v_fmac_f32_e32 v21, v3, v2
	ds_load_b128 v[0:3], v36 offset:784
	ds_load_b128 v[4:7], v36 offset:1808
	ds_load_b128 v[8:11], v36 offset:272
	s_wait_dscnt 0x0
	v_pk_mul_f32 v[8:9], v[20:21], v[8:9] op_sel_hi:[0,1]
	s_delay_alu instid0(VALU_DEP_1) | instskip(SKIP_1) | instid1(VALU_DEP_2)
	v_fmac_f32_e32 v12, v8, v4
	v_mov_b32_e32 v4, v16
	v_dual_fmac_f32 v21, v0, v12 :: v_dual_mov_b32 v0, v79
	ds_load_b128 v[12:15], v36 offset:1296
	v_fmac_f32_e32 v0, v9, v5
	s_delay_alu instid0(VALU_DEP_1) | instskip(NEXT) | instid1(VALU_DEP_1)
	v_fmac_f32_e32 v21, v1, v0
	v_pk_mul_f32 v[0:1], v[20:21], v[10:11] op_sel_hi:[0,1]
	s_delay_alu instid0(VALU_DEP_1) | instskip(SKIP_3) | instid1(VALU_DEP_3)
	v_fmac_f32_e32 v4, v0, v6
	s_wait_dscnt 0x0
	v_pk_fma_f32 v[78:79], v[78:79], v[12:13], v[8:9]
	v_mov_b32_e32 v12, v74
	v_dual_fmac_f32 v21, v2, v4 :: v_dual_mov_b32 v2, v17
	v_pk_fma_f32 v[16:17], v[16:17], v[14:15], v[0:1]
	s_delay_alu instid0(VALU_DEP_2) | instskip(NEXT) | instid1(VALU_DEP_1)
	v_fmac_f32_e32 v2, v1, v7
	v_fmac_f32_e32 v21, v3, v2
	ds_load_b128 v[0:3], v36 offset:800
	ds_load_b128 v[4:7], v36 offset:1824
	ds_load_b128 v[8:11], v36 offset:288
	s_wait_dscnt 0x0
	v_pk_mul_f32 v[8:9], v[20:21], v[8:9] op_sel_hi:[0,1]
	s_delay_alu instid0(VALU_DEP_1) | instskip(SKIP_1) | instid1(VALU_DEP_2)
	v_fmac_f32_e32 v12, v8, v4
	v_mov_b32_e32 v4, v72
	v_dual_fmac_f32 v21, v0, v12 :: v_dual_mov_b32 v0, v75
	ds_load_b128 v[12:15], v36 offset:1312
	v_fmac_f32_e32 v0, v9, v5
	s_delay_alu instid0(VALU_DEP_1) | instskip(NEXT) | instid1(VALU_DEP_1)
	v_fmac_f32_e32 v21, v1, v0
	v_pk_mul_f32 v[0:1], v[20:21], v[10:11] op_sel_hi:[0,1]
	s_delay_alu instid0(VALU_DEP_1) | instskip(SKIP_3) | instid1(VALU_DEP_3)
	v_fmac_f32_e32 v4, v0, v6
	s_wait_dscnt 0x0
	v_pk_fma_f32 v[74:75], v[74:75], v[12:13], v[8:9]
	v_mov_b32_e32 v12, v70
	v_dual_fmac_f32 v21, v2, v4 :: v_dual_mov_b32 v2, v73
	v_pk_fma_f32 v[72:73], v[72:73], v[14:15], v[0:1]
	s_delay_alu instid0(VALU_DEP_2) | instskip(NEXT) | instid1(VALU_DEP_1)
	v_fmac_f32_e32 v2, v1, v7
	v_fmac_f32_e32 v21, v3, v2
	ds_load_b128 v[0:3], v36 offset:816
	ds_load_b128 v[4:7], v36 offset:1840
	ds_load_b128 v[8:11], v36 offset:304
	s_wait_dscnt 0x0
	v_pk_mul_f32 v[8:9], v[20:21], v[8:9] op_sel_hi:[0,1]
	s_delay_alu instid0(VALU_DEP_1) | instskip(SKIP_1) | instid1(VALU_DEP_2)
	v_fmac_f32_e32 v12, v8, v4
	v_mov_b32_e32 v4, v68
	v_dual_fmac_f32 v21, v0, v12 :: v_dual_mov_b32 v0, v71
	ds_load_b128 v[12:15], v36 offset:1328
	v_fmac_f32_e32 v0, v9, v5
	s_delay_alu instid0(VALU_DEP_1) | instskip(NEXT) | instid1(VALU_DEP_1)
	v_fmac_f32_e32 v21, v1, v0
	v_pk_mul_f32 v[0:1], v[20:21], v[10:11] op_sel_hi:[0,1]
	s_delay_alu instid0(VALU_DEP_1) | instskip(SKIP_2) | instid1(VALU_DEP_2)
	v_fmac_f32_e32 v4, v0, v6
	s_wait_dscnt 0x0
	v_pk_fma_f32 v[70:71], v[70:71], v[12:13], v[8:9]
	v_dual_mov_b32 v12, v28 :: v_dual_fmac_f32 v21, v2, v4
	v_mov_b32_e32 v2, v69
	v_pk_fma_f32 v[68:69], v[68:69], v[14:15], v[0:1]
	s_delay_alu instid0(VALU_DEP_2) | instskip(NEXT) | instid1(VALU_DEP_1)
	v_fmac_f32_e32 v2, v1, v7
	v_fmac_f32_e32 v21, v3, v2
	ds_load_b128 v[0:3], v36 offset:832
	ds_load_b128 v[4:7], v36 offset:1856
	;; [unrolled: 1-line block ×3, first 2 shown]
	s_wait_dscnt 0x0
	v_pk_mul_f32 v[8:9], v[20:21], v[8:9] op_sel_hi:[0,1]
	s_delay_alu instid0(VALU_DEP_1) | instskip(SKIP_1) | instid1(VALU_DEP_2)
	v_fmac_f32_e32 v12, v8, v4
	v_mov_b32_e32 v4, v64
	v_dual_fmac_f32 v21, v0, v12 :: v_dual_mov_b32 v0, v29
	ds_load_b128 v[12:15], v36 offset:1344
	v_fmac_f32_e32 v0, v9, v5
	s_delay_alu instid0(VALU_DEP_1) | instskip(NEXT) | instid1(VALU_DEP_1)
	v_fmac_f32_e32 v21, v1, v0
	v_pk_mul_f32 v[0:1], v[20:21], v[10:11] op_sel_hi:[0,1]
	s_delay_alu instid0(VALU_DEP_1) | instskip(SKIP_3) | instid1(VALU_DEP_3)
	v_fmac_f32_e32 v4, v0, v6
	s_wait_dscnt 0x0
	v_pk_fma_f32 v[28:29], v[28:29], v[12:13], v[8:9]
	v_mov_b32_e32 v12, v62
	v_dual_fmac_f32 v21, v2, v4 :: v_dual_mov_b32 v2, v65
	v_pk_fma_f32 v[64:65], v[64:65], v[14:15], v[0:1]
	s_delay_alu instid0(VALU_DEP_2) | instskip(NEXT) | instid1(VALU_DEP_1)
	v_fmac_f32_e32 v2, v1, v7
	v_fmac_f32_e32 v21, v3, v2
	ds_load_b128 v[0:3], v36 offset:848
	ds_load_b128 v[4:7], v36 offset:1872
	;; [unrolled: 1-line block ×3, first 2 shown]
	s_wait_dscnt 0x0
	v_pk_mul_f32 v[8:9], v[20:21], v[8:9] op_sel_hi:[0,1]
	s_delay_alu instid0(VALU_DEP_1) | instskip(SKIP_1) | instid1(VALU_DEP_2)
	v_fmac_f32_e32 v12, v8, v4
	v_mov_b32_e32 v4, v60
	v_dual_fmac_f32 v21, v0, v12 :: v_dual_mov_b32 v0, v63
	ds_load_b128 v[12:15], v36 offset:1360
	v_fmac_f32_e32 v0, v9, v5
	s_delay_alu instid0(VALU_DEP_1) | instskip(NEXT) | instid1(VALU_DEP_1)
	v_fmac_f32_e32 v21, v1, v0
	v_pk_mul_f32 v[0:1], v[20:21], v[10:11] op_sel_hi:[0,1]
	s_delay_alu instid0(VALU_DEP_1) | instskip(SKIP_3) | instid1(VALU_DEP_3)
	v_fmac_f32_e32 v4, v0, v6
	s_wait_dscnt 0x0
	v_pk_fma_f32 v[62:63], v[62:63], v[12:13], v[8:9]
	v_mov_b32_e32 v12, v58
	v_dual_fmac_f32 v21, v2, v4 :: v_dual_mov_b32 v2, v61
	v_pk_fma_f32 v[60:61], v[60:61], v[14:15], v[0:1]
	s_delay_alu instid0(VALU_DEP_2) | instskip(NEXT) | instid1(VALU_DEP_1)
	v_fmac_f32_e32 v2, v1, v7
	v_fmac_f32_e32 v21, v3, v2
	ds_load_b128 v[0:3], v36 offset:864
	ds_load_b128 v[4:7], v36 offset:1888
	;; [unrolled: 1-line block ×3, first 2 shown]
	s_wait_dscnt 0x0
	v_pk_mul_f32 v[8:9], v[20:21], v[8:9] op_sel_hi:[0,1]
	s_delay_alu instid0(VALU_DEP_1) | instskip(NEXT) | instid1(VALU_DEP_1)
	v_dual_fmac_f32 v12, v8, v4 :: v_dual_mov_b32 v4, v26
	v_dual_fmac_f32 v21, v0, v12 :: v_dual_mov_b32 v0, v59
	ds_load_b128 v[12:15], v36 offset:1376
	v_fmac_f32_e32 v0, v9, v5
	s_delay_alu instid0(VALU_DEP_1) | instskip(NEXT) | instid1(VALU_DEP_1)
	v_fmac_f32_e32 v21, v1, v0
	v_pk_mul_f32 v[0:1], v[20:21], v[10:11] op_sel_hi:[0,1]
	s_delay_alu instid0(VALU_DEP_1) | instskip(SKIP_3) | instid1(VALU_DEP_3)
	v_fmac_f32_e32 v4, v0, v6
	s_wait_dscnt 0x0
	v_pk_fma_f32 v[58:59], v[58:59], v[12:13], v[8:9]
	v_mov_b32_e32 v12, v54
	v_dual_fmac_f32 v21, v2, v4 :: v_dual_mov_b32 v2, v27
	v_pk_fma_f32 v[26:27], v[26:27], v[14:15], v[0:1]
	s_delay_alu instid0(VALU_DEP_2) | instskip(NEXT) | instid1(VALU_DEP_1)
	v_fmac_f32_e32 v2, v1, v7
	v_fmac_f32_e32 v21, v3, v2
	ds_load_b128 v[0:3], v36 offset:880
	ds_load_b128 v[4:7], v36 offset:1904
	ds_load_b128 v[8:11], v36 offset:368
	s_wait_dscnt 0x0
	v_pk_mul_f32 v[8:9], v[20:21], v[8:9] op_sel_hi:[0,1]
	s_delay_alu instid0(VALU_DEP_1) | instskip(SKIP_1) | instid1(VALU_DEP_2)
	v_fmac_f32_e32 v12, v8, v4
	v_mov_b32_e32 v4, v52
	v_dual_fmac_f32 v21, v0, v12 :: v_dual_mov_b32 v0, v55
	ds_load_b128 v[12:15], v36 offset:1392
	v_fmac_f32_e32 v0, v9, v5
	s_delay_alu instid0(VALU_DEP_1) | instskip(NEXT) | instid1(VALU_DEP_1)
	v_fmac_f32_e32 v21, v1, v0
	v_pk_mul_f32 v[0:1], v[20:21], v[10:11] op_sel_hi:[0,1]
	s_delay_alu instid0(VALU_DEP_1) | instskip(SKIP_3) | instid1(VALU_DEP_3)
	v_fmac_f32_e32 v4, v0, v6
	s_wait_dscnt 0x0
	v_pk_fma_f32 v[54:55], v[54:55], v[12:13], v[8:9]
	v_mov_b32_e32 v12, v50
	v_dual_fmac_f32 v21, v2, v4 :: v_dual_mov_b32 v2, v53
	v_pk_fma_f32 v[52:53], v[52:53], v[14:15], v[0:1]
	s_delay_alu instid0(VALU_DEP_2) | instskip(NEXT) | instid1(VALU_DEP_1)
	v_fmac_f32_e32 v2, v1, v7
	v_fmac_f32_e32 v21, v3, v2
	ds_load_b128 v[0:3], v36 offset:896
	ds_load_b128 v[4:7], v36 offset:1920
	ds_load_b128 v[8:11], v36 offset:384
	s_wait_dscnt 0x0
	v_pk_mul_f32 v[8:9], v[20:21], v[8:9] op_sel_hi:[0,1]
	s_delay_alu instid0(VALU_DEP_1) | instskip(SKIP_1) | instid1(VALU_DEP_2)
	v_fmac_f32_e32 v12, v8, v4
	v_mov_b32_e32 v4, v48
	;; [unrolled: 24-line block ×6, first 2 shown]
	v_dual_fmac_f32 v21, v0, v12 :: v_dual_mov_b32 v0, v35
	ds_load_b128 v[12:15], v36 offset:1472
	v_fmac_f32_e32 v0, v9, v5
	s_delay_alu instid0(VALU_DEP_1) | instskip(NEXT) | instid1(VALU_DEP_1)
	v_fmac_f32_e32 v21, v1, v0
	v_pk_mul_f32 v[0:1], v[20:21], v[10:11] op_sel_hi:[0,1]
	s_delay_alu instid0(VALU_DEP_1) | instskip(SKIP_2) | instid1(VALU_DEP_2)
	v_fmac_f32_e32 v4, v0, v6
	s_wait_dscnt 0x0
	v_pk_fma_f32 v[34:35], v[34:35], v[12:13], v[8:9]
	v_dual_fmac_f32 v21, v2, v4 :: v_dual_mov_b32 v2, v33
	v_pk_fma_f32 v[32:33], v[32:33], v[14:15], v[0:1]
	s_delay_alu instid0(VALU_DEP_2) | instskip(NEXT) | instid1(VALU_DEP_1)
	v_fmac_f32_e32 v2, v1, v7
	v_fmac_f32_e32 v21, v3, v2
	ds_load_b128 v[0:3], v36 offset:464
	ds_load_b128 v[4:7], v36 offset:976
	;; [unrolled: 1-line block ×3, first 2 shown]
	scratch_load_b64 v[124:125], off, off offset:8 ; 8-byte Folded Reload
	ds_load_b128 v[12:15], v36 offset:1488
	s_wait_dscnt 0x3
	v_pk_mul_f32 v[0:1], v[20:21], v[0:1] op_sel_hi:[0,1]
	s_wait_loadcnt_dscnt 0x1
	s_delay_alu instid0(VALU_DEP_1) | instskip(NEXT) | instid1(VALU_DEP_1)
	v_pk_fma_f32 v[8:9], v[0:1], v[8:9], v[124:125]
	v_pk_mul_f32 v[4:5], v[4:5], v[8:9]
	v_mov_b64_e32 v[8:9], v[124:125]
	s_delay_alu instid0(VALU_DEP_2) | instskip(SKIP_1) | instid1(VALU_DEP_2)
	v_add_f32_e32 v4, v21, v4
	s_wait_dscnt 0x0
	v_pk_fma_f32 v[8:9], v[8:9], v[12:13], v[0:1]
	s_delay_alu instid0(VALU_DEP_2)
	v_add_f32_e32 v4, v4, v5
	v_pk_mul_f32 v[0:1], v[20:21], v[2:3] op_sel_hi:[0,1]
	s_clause 0x1
	scratch_store_b64 off, v[8:9], off offset:8
	scratch_load_b64 v[8:9], off, off offset:40
	s_wait_loadcnt 0x0
	v_pk_fma_f32 v[2:3], v[0:1], v[10:11], v[8:9]
	s_delay_alu instid0(VALU_DEP_1) | instskip(NEXT) | instid1(VALU_DEP_1)
	v_pk_mul_f32 v[2:3], v[6:7], v[2:3]
	v_add_f32_e32 v2, v4, v2
	s_delay_alu instid0(VALU_DEP_1) | instskip(SKIP_1) | instid1(VALU_DEP_1)
	v_add_f32_e32 v12, v2, v3
	v_mov_b64_e32 v[2:3], v[8:9]
	v_pk_fma_f32 v[2:3], v[2:3], v[14:15], v[0:1]
	scratch_store_b64 off, v[2:3], off offset:40 ; 8-byte Folded Spill
	s_wait_xcnt 0x0
	ds_load_b128 v[0:3], v36 offset:480
	ds_load_b128 v[4:7], v36 offset:992
	;; [unrolled: 1-line block ×3, first 2 shown]
	scratch_load_b64 v[124:125], off, off offset:160 th:TH_LOAD_LU ; 8-byte Folded Reload
	s_wait_dscnt 0x2
	v_pk_mul_f32 v[0:1], v[20:21], v[0:1] op_sel_hi:[0,1]
	s_wait_loadcnt_dscnt 0x0
	s_delay_alu instid0(VALU_DEP_1) | instskip(NEXT) | instid1(VALU_DEP_1)
	v_pk_fma_f32 v[8:9], v[0:1], v[8:9], v[124:125]
	v_pk_mul_f32 v[4:5], v[4:5], v[8:9]
	s_delay_alu instid0(VALU_DEP_1)
	v_add_f32_e32 v4, v12, v4
	ds_load_b128 v[12:15], v36 offset:1504
	v_add_f32_e32 v4, v4, v5
	s_wait_dscnt 0x0
	v_pk_fma_f32 v[124:125], v[124:125], v[12:13], v[0:1]
	v_pk_mul_f32 v[0:1], v[20:21], v[2:3] op_sel_hi:[0,1]
	s_delay_alu instid0(VALU_DEP_1) | instskip(SKIP_1) | instid1(VALU_DEP_2)
	v_pk_fma_f32 v[2:3], v[0:1], v[10:11], v[24:25]
	v_pk_fma_f32 v[24:25], v[24:25], v[14:15], v[0:1]
	v_pk_mul_f32 v[2:3], v[6:7], v[2:3]
	s_delay_alu instid0(VALU_DEP_1) | instskip(NEXT) | instid1(VALU_DEP_1)
	v_add_f32_e32 v2, v4, v2
	v_add_f32_e32 v12, v2, v3
	ds_load_b128 v[0:3], v36 offset:496
	ds_load_b128 v[4:7], v36 offset:1008
	;; [unrolled: 1-line block ×3, first 2 shown]
	scratch_load_b64 v[126:127], off, off offset:16 ; 8-byte Folded Reload
	s_wait_dscnt 0x2
	v_pk_mul_f32 v[0:1], v[20:21], v[0:1] op_sel_hi:[0,1]
	v_pk_mul_f32 v[2:3], v[20:21], v[2:3] op_sel_hi:[0,1]
	s_wait_loadcnt_dscnt 0x0
	s_delay_alu instid0(VALU_DEP_2) | instskip(NEXT) | instid1(VALU_DEP_1)
	v_pk_fma_f32 v[8:9], v[0:1], v[8:9], v[126:127]
	v_pk_mul_f32 v[4:5], v[4:5], v[8:9]
	scratch_load_b64 v[8:9], off, off offset:96 th:TH_LOAD_LU ; 8-byte Folded Reload
	v_add_f32_e32 v4, v12, v4
	ds_load_b128 v[12:15], v36 offset:1520
	v_add_f32_e32 v4, v4, v5
	s_wait_dscnt 0x0
	v_pk_fma_f32 v[126:127], v[126:127], v[12:13], v[0:1]
	scratch_store_b64 off, v[126:127], off offset:16 ; 8-byte Folded Spill
	s_wait_loadcnt 0x0
	v_pk_fma_f32 v[0:1], v[2:3], v[10:11], v[8:9]
	v_pk_fma_f32 v[8:9], v[8:9], v[14:15], v[2:3]
	scratch_load_b64 v[2:3], off, off       ; 8-byte Folded Reload
	v_pk_mul_f32 v[0:1], v[6:7], v[0:1]
	s_delay_alu instid0(VALU_DEP_1)
	v_add_f32_e32 v0, v4, v0
	scratch_load_b32 v4, off, off offset:168 ; 4-byte Folded Reload
	v_add_f32_e32 v0, v0, v1
	s_wait_loadcnt 0x1
	v_add_nc_u64_e32 v[2:3], s[8:9], v[2:3]
	global_store_b32 v[2:3], v0, off
	s_clause 0x2
	scratch_load_b64 v[2:3], off, off th:TH_LOAD_LU
	scratch_load_b32 v0, off, off offset:172
	scratch_load_b64 v[6:7], off, off offset:88 th:TH_LOAD_LU
	s_wait_loadcnt 0x2
	v_add_nc_u64_e32 v[2:3], s[0:1], v[2:3]
	s_wait_loadcnt 0x0
	v_add_nc_u32_e32 v6, s22, v6
	s_delay_alu instid0(VALU_DEP_1)
	v_cmp_ge_i32_e32 vcc_lo, v6, v0
	v_mov_b32_e32 v10, v6
	s_or_b32 s2, vcc_lo, s2
	scratch_store_b64 off, v[10:11], off offset:88 ; 8-byte Folded Spill
	s_wait_xcnt 0x0
	s_and_not1_b32 exec_lo, exec_lo, s2
	s_cbranch_execnz .LBB1_2
; %bb.3:
	s_or_b32 exec_lo, exec_lo, s2
	s_clause 0x5
	scratch_load_b32 v3, off, off offset:176
	scratch_load_b64 v[6:7], off, off offset:64
	scratch_load_b64 v[10:11], off, off offset:48
	;; [unrolled: 1-line block ×5, first 2 shown]
.LBB1_4:
	s_wait_xcnt 0x0
	s_or_b32 exec_lo, exec_lo, s3
	s_wait_loadcnt 0x5
	v_mad_u32 v0, s22, s21, v3
	scratch_load_b64 v[2:3], off, off offset:32 th:TH_LOAD_LU ; 8-byte Folded Reload
	s_wait_loadcnt 0x0
	s_clause 0x1
	global_store_b32 v0, v2, s[8:9] scale_offset
	global_store_b32 v0, v3, s[8:9] offset:512 scale_offset
	scratch_load_b64 v[2:3], off, off offset:24 th:TH_LOAD_LU ; 8-byte Folded Reload
	s_wait_loadcnt 0x0
	s_clause 0x3e
	global_store_b32 v0, v2, s[8:9] offset:1024 scale_offset
	global_store_b32 v0, v3, s[8:9] offset:1536 scale_offset
	;; [unrolled: 1-line block ×63, first 2 shown]
	s_clause 0x32
	global_store_b32 v0, v83, s[8:9] offset:33280 scale_offset
	global_store_b32 v0, v80, s[8:9] offset:33792 scale_offset
	;; [unrolled: 1-line block ×51, first 2 shown]
	scratch_load_b64 v[2:3], off, off offset:8 th:TH_LOAD_LU ; 8-byte Folded Reload
	s_wait_loadcnt 0x0
	s_clause 0x1
	global_store_b32 v0, v2, s[8:9] offset:59392 scale_offset
	global_store_b32 v0, v3, s[8:9] offset:59904 scale_offset
	scratch_load_b64 v[126:127], off, off offset:40 th:TH_LOAD_LU ; 8-byte Folded Reload
	s_wait_loadcnt 0x0
	s_clause 0x5
	global_store_b32 v0, v126, s[8:9] offset:60416 scale_offset
	global_store_b32 v0, v127, s[8:9] offset:60928 scale_offset
	;; [unrolled: 1-line block ×6, first 2 shown]
	scratch_load_b64 v[2:3], off, off offset:16 th:TH_LOAD_LU ; 8-byte Folded Reload
	s_wait_loadcnt 0x0
	s_clause 0x3
	global_store_b32 v0, v2, s[8:9] offset:63488 scale_offset
	global_store_b32 v0, v3, s[8:9] offset:64000 scale_offset
	;; [unrolled: 1-line block ×4, first 2 shown]
	s_sendmsg sendmsg(MSG_DEALLOC_VGPRS)
	s_endpgm
	.section	.rodata,"a",@progbits
	.p2align	6, 0x0
	.amdhsa_kernel _ZL12rwkv_wkv_f32ILi128EEviiiiPKfS1_S1_S1_S1_S1_Pf
		.amdhsa_group_segment_fixed_size 2048
		.amdhsa_private_segment_fixed_size 184
		.amdhsa_kernarg_size 72
		.amdhsa_user_sgpr_count 2
		.amdhsa_user_sgpr_dispatch_ptr 0
		.amdhsa_user_sgpr_queue_ptr 0
		.amdhsa_user_sgpr_kernarg_segment_ptr 1
		.amdhsa_user_sgpr_dispatch_id 0
		.amdhsa_user_sgpr_kernarg_preload_length 0
		.amdhsa_user_sgpr_kernarg_preload_offset 0
		.amdhsa_user_sgpr_private_segment_size 0
		.amdhsa_wavefront_size32 1
		.amdhsa_uses_dynamic_stack 0
		.amdhsa_enable_private_segment 1
		.amdhsa_system_sgpr_workgroup_id_x 1
		.amdhsa_system_sgpr_workgroup_id_y 0
		.amdhsa_system_sgpr_workgroup_id_z 0
		.amdhsa_system_sgpr_workgroup_info 0
		.amdhsa_system_vgpr_workitem_id 0
		.amdhsa_next_free_vgpr 128
		.amdhsa_next_free_sgpr 26
		.amdhsa_named_barrier_count 0
		.amdhsa_reserve_vcc 1
		.amdhsa_float_round_mode_32 0
		.amdhsa_float_round_mode_16_64 0
		.amdhsa_float_denorm_mode_32 3
		.amdhsa_float_denorm_mode_16_64 3
		.amdhsa_fp16_overflow 0
		.amdhsa_memory_ordered 1
		.amdhsa_forward_progress 1
		.amdhsa_inst_pref_size 74
		.amdhsa_round_robin_scheduling 0
		.amdhsa_exception_fp_ieee_invalid_op 0
		.amdhsa_exception_fp_denorm_src 0
		.amdhsa_exception_fp_ieee_div_zero 0
		.amdhsa_exception_fp_ieee_overflow 0
		.amdhsa_exception_fp_ieee_underflow 0
		.amdhsa_exception_fp_ieee_inexact 0
		.amdhsa_exception_int_div_zero 0
	.end_amdhsa_kernel
	.section	.text._ZL12rwkv_wkv_f32ILi128EEviiiiPKfS1_S1_S1_S1_S1_Pf,"axG",@progbits,_ZL12rwkv_wkv_f32ILi128EEviiiiPKfS1_S1_S1_S1_S1_Pf,comdat
.Lfunc_end1:
	.size	_ZL12rwkv_wkv_f32ILi128EEviiiiPKfS1_S1_S1_S1_S1_Pf, .Lfunc_end1-_ZL12rwkv_wkv_f32ILi128EEviiiiPKfS1_S1_S1_S1_S1_Pf
                                        ; -- End function
	.set _ZL12rwkv_wkv_f32ILi128EEviiiiPKfS1_S1_S1_S1_S1_Pf.num_vgpr, 128
	.set _ZL12rwkv_wkv_f32ILi128EEviiiiPKfS1_S1_S1_S1_S1_Pf.num_agpr, 0
	.set _ZL12rwkv_wkv_f32ILi128EEviiiiPKfS1_S1_S1_S1_S1_Pf.numbered_sgpr, 26
	.set _ZL12rwkv_wkv_f32ILi128EEviiiiPKfS1_S1_S1_S1_S1_Pf.num_named_barrier, 0
	.set _ZL12rwkv_wkv_f32ILi128EEviiiiPKfS1_S1_S1_S1_S1_Pf.private_seg_size, 184
	.set _ZL12rwkv_wkv_f32ILi128EEviiiiPKfS1_S1_S1_S1_S1_Pf.uses_vcc, 1
	.set _ZL12rwkv_wkv_f32ILi128EEviiiiPKfS1_S1_S1_S1_S1_Pf.uses_flat_scratch, 1
	.set _ZL12rwkv_wkv_f32ILi128EEviiiiPKfS1_S1_S1_S1_S1_Pf.has_dyn_sized_stack, 0
	.set _ZL12rwkv_wkv_f32ILi128EEviiiiPKfS1_S1_S1_S1_S1_Pf.has_recursion, 0
	.set _ZL12rwkv_wkv_f32ILi128EEviiiiPKfS1_S1_S1_S1_S1_Pf.has_indirect_call, 0
	.section	.AMDGPU.csdata,"",@progbits
; Kernel info:
; codeLenInByte = 9420
; TotalNumSgprs: 28
; NumVgprs: 128
; ScratchSize: 184
; MemoryBound: 0
; FloatMode: 240
; IeeeMode: 1
; LDSByteSize: 2048 bytes/workgroup (compile time only)
; SGPRBlocks: 0
; VGPRBlocks: 7
; NumSGPRsForWavesPerEU: 28
; NumVGPRsForWavesPerEU: 128
; NamedBarCnt: 0
; Occupancy: 8
; WaveLimiterHint : 1
; COMPUTE_PGM_RSRC2:SCRATCH_EN: 1
; COMPUTE_PGM_RSRC2:USER_SGPR: 2
; COMPUTE_PGM_RSRC2:TRAP_HANDLER: 0
; COMPUTE_PGM_RSRC2:TGID_X_EN: 1
; COMPUTE_PGM_RSRC2:TGID_Y_EN: 0
; COMPUTE_PGM_RSRC2:TGID_Z_EN: 0
; COMPUTE_PGM_RSRC2:TIDIG_COMP_CNT: 0
	.section	.text._ZL13rwkv_wkv7_f32ILi64EEviiiiPKfS1_S1_S1_S1_S1_S1_Pf,"axG",@progbits,_ZL13rwkv_wkv7_f32ILi64EEviiiiPKfS1_S1_S1_S1_S1_S1_Pf,comdat
	.globl	_ZL13rwkv_wkv7_f32ILi64EEviiiiPKfS1_S1_S1_S1_S1_S1_Pf ; -- Begin function _ZL13rwkv_wkv7_f32ILi64EEviiiiPKfS1_S1_S1_S1_S1_S1_Pf
	.p2align	8
	.type	_ZL13rwkv_wkv7_f32ILi64EEviiiiPKfS1_S1_S1_S1_S1_S1_Pf,@function
_ZL13rwkv_wkv7_f32ILi64EEviiiiPKfS1_S1_S1_S1_S1_S1_Pf: ; @_ZL13rwkv_wkv7_f32ILi64EEviiiiPKfS1_S1_S1_S1_S1_S1_Pf
; %bb.0:
	s_load_b128 s[20:23], s[0:1], 0x0
	s_bfe_u32 s2, ttmp6, 0x4000c
	s_and_b32 s3, ttmp6, 15
	s_add_co_i32 s2, s2, 1
	s_getreg_b32 s4, hwreg(HW_REG_IB_STS2, 6, 4)
	s_mul_i32 s2, ttmp9, s2
	s_delay_alu instid0(SALU_CYCLE_1) | instskip(SKIP_2) | instid1(SALU_CYCLE_1)
	s_add_co_i32 s3, s3, s2
	s_cmp_eq_u32 s4, 0
	s_cselect_b32 s2, ttmp9, s3
	s_abs_i32 s6, s2
	s_wait_kmcnt 0x0
	s_abs_i32 s3, s23
	s_delay_alu instid0(SALU_CYCLE_1) | instskip(SKIP_1) | instid1(SALU_CYCLE_2)
	s_cvt_f32_u32 s4, s3
	s_sub_co_i32 s5, 0, s3
	v_rcp_iflag_f32_e32 v1, s4
	v_nop
	s_delay_alu instid0(TRANS32_DEP_1) | instskip(SKIP_2) | instid1(SALU_CYCLE_3)
	v_readfirstlane_b32 s4, v1
	v_lshlrev_b32_e32 v1, 6, v0
	s_mul_f32 s4, s4, 0x4f7ffffe
	s_cvt_u32_f32 s4, s4
	s_delay_alu instid0(SALU_CYCLE_3) | instskip(NEXT) | instid1(SALU_CYCLE_1)
	s_mul_i32 s5, s5, s4
	s_mul_hi_u32 s5, s4, s5
	s_delay_alu instid0(SALU_CYCLE_1) | instskip(SKIP_4) | instid1(SALU_CYCLE_1)
	s_add_co_i32 s4, s4, s5
	s_xor_b32 s5, s2, s23
	s_mul_hi_u32 s4, s6, s4
	s_ashr_i32 s24, s5, 31
	s_mul_i32 s7, s4, s3
	s_sub_co_i32 s5, s6, s7
	s_add_co_i32 s6, s4, 1
	s_sub_co_i32 s7, s5, s3
	s_cmp_ge_u32 s5, s3
	s_cselect_b32 s4, s6, s4
	s_cselect_b32 s5, s7, s5
	s_add_co_i32 s6, s4, 1
	s_cmp_ge_u32 s5, s3
	s_cselect_b32 s3, s6, s4
	s_load_b512 s[4:19], s[0:1], 0x10
	s_wait_xcnt 0x0
	s_xor_b32 s0, s3, s24
	s_delay_alu instid0(SALU_CYCLE_1) | instskip(NEXT) | instid1(SALU_CYCLE_1)
	s_sub_co_i32 s0, s0, s24
	s_mul_i32 s1, s0, s23
	s_mul_i32 s3, s22, s0
	s_sub_co_i32 s1, s2, s1
	s_lshl_b32 s2, s3, 6
	s_lshl_b32 s3, s1, 12
	s_delay_alu instid0(SALU_CYCLE_1) | instskip(SKIP_1) | instid1(SALU_CYCLE_1)
	v_add3_u32 v66, s3, s2, v1
	s_abs_i32 s2, s20
	s_cvt_f32_u32 s3, s2
	s_delay_alu instid0(VALU_DEP_1) | instskip(NEXT) | instid1(SALU_CYCLE_2)
	v_ashrrev_i32_e32 v67, 31, v66
	v_rcp_iflag_f32_e32 v1, s3
	s_wait_kmcnt 0x0
	s_delay_alu instid0(VALU_DEP_1)
	v_lshl_add_u64 v[18:19], v[66:67], 2, s[16:17]
	s_sub_co_i32 s16, 0, s2
	s_abs_i32 s17, s21
	s_clause 0xf
	global_load_b128 v[42:45], v[18:19], off offset:48
	global_load_b128 v[50:53], v[18:19], off offset:32
	global_load_b128 v[58:61], v[18:19], off offset:16
	global_load_b128 v[62:65], v[18:19], off
	global_load_b128 v[30:33], v[18:19], off offset:112
	global_load_b128 v[38:41], v[18:19], off offset:96
	;; [unrolled: 1-line block ×12, first 2 shown]
	v_readfirstlane_b32 s3, v1
	v_lshl_add_u32 v1, s1, 6, v0
	s_mul_f32 s3, s3, 0x4f7ffffe
	s_delay_alu instid0(SALU_CYCLE_3) | instskip(NEXT) | instid1(SALU_CYCLE_3)
	s_cvt_u32_f32 s3, s3
	s_mul_i32 s16, s16, s3
	s_delay_alu instid0(SALU_CYCLE_1) | instskip(NEXT) | instid1(SALU_CYCLE_1)
	s_mul_hi_u32 s16, s3, s16
	s_add_co_i32 s3, s3, s16
	s_xor_b32 s16, s21, s20
	s_mul_hi_u32 s3, s17, s3
	s_ashr_i32 s16, s16, 31
	s_mul_i32 s20, s3, s2
	s_delay_alu instid0(SALU_CYCLE_1)
	s_sub_co_i32 s17, s17, s20
	s_add_co_i32 s20, s3, 1
	s_sub_co_i32 s23, s17, s2
	s_cmp_ge_u32 s17, s2
	s_cselect_b32 s3, s20, s3
	s_cselect_b32 s17, s23, s17
	s_add_co_i32 s20, s3, 1
	s_cmp_ge_u32 s17, s2
	s_cselect_b32 s2, s20, s3
	s_mov_b32 s3, 0
	s_xor_b32 s2, s2, s16
	s_delay_alu instid0(SALU_CYCLE_1) | instskip(SKIP_2) | instid1(SALU_CYCLE_1)
	s_sub_co_i32 s1, s2, s16
	s_add_co_i32 s2, s0, 1
	s_mul_i32 s1, s1, s22
	v_mad_u32 v68, s1, s0, v1
	v_mad_u32 v67, s1, s2, v1
	s_mov_b32 s2, exec_lo
	s_wait_xcnt 0x0
	s_delay_alu instid0(VALU_DEP_1)
	v_cmpx_lt_i32_e64 v68, v67
	s_cbranch_execz .LBB2_4
; %bb.1:
	v_ashrrev_i32_e32 v69, 31, v68
	v_dual_lshlrev_b32 v85, 2, v0 :: v_dual_mov_b32 v89, 0
	s_ashr_i32 s23, s22, 31
	s_delay_alu instid0(SALU_CYCLE_1) | instskip(NEXT) | instid1(VALU_DEP_2)
	s_lshl_b64 s[0:1], s[22:23], 2
	v_lshlrev_b64_e32 v[0:1], 2, v[68:69]
	s_delay_alu instid0(VALU_DEP_2)
	v_add_nc_u32_e32 v86, 0x300, v85
	v_add_nc_u32_e32 v87, 0x400, v85
	;; [unrolled: 1-line block ×4, first 2 shown]
.LBB2_2:                                ; =>This Inner Loop Header: Depth=1
	v_add_nc_u64_e32 v[70:71], s[4:5], v[0:1]
	s_wait_loadcnt 0x0
	s_barrier_signal -1
	s_barrier_wait -1
	v_add_nc_u32_e32 v68, s22, v68
	global_load_b32 v72, v[70:71], off
	s_wait_xcnt 0x0
	v_add_nc_u64_e32 v[70:71], s[6:7], v[0:1]
	v_cmp_ge_i32_e32 vcc_lo, v68, v67
	global_load_b32 v73, v[70:71], off
	s_wait_xcnt 0x0
	v_add_nc_u64_e32 v[70:71], s[8:9], v[0:1]
	s_or_b32 s3, vcc_lo, s3
	global_load_b32 v74, v[70:71], off
	s_wait_xcnt 0x0
	v_add_nc_u64_e32 v[70:71], s[12:13], v[0:1]
	global_load_b32 v75, v[70:71], off
	s_wait_xcnt 0x0
	v_add_nc_u64_e32 v[70:71], s[14:15], v[0:1]
	global_load_b32 v70, v[70:71], off
	s_wait_loadcnt 0x4
	ds_store_b32 v86, v72
	s_wait_loadcnt 0x3
	ds_store_b32 v87, v73
	;; [unrolled: 2-line block ×5, first 2 shown]
	s_wait_dscnt 0x0
	s_barrier_signal -1
	s_barrier_wait -1
	s_wait_xcnt 0x0
	ds_load_b128 v[70:73], v89
	ds_load_b128 v[74:77], v89 offset:208
	ds_load_b128 v[78:81], v89 offset:224
	;; [unrolled: 1-line block ×3, first 2 shown]
	s_wait_dscnt 0x3
	v_fma_f32 v90, v70, v62, 0
	s_delay_alu instid0(VALU_DEP_1) | instskip(NEXT) | instid1(VALU_DEP_1)
	v_fmac_f32_e32 v90, v71, v63
	v_fmac_f32_e32 v90, v72, v64
	s_delay_alu instid0(VALU_DEP_1)
	v_fmac_f32_e32 v90, v73, v65
	ds_load_b128 v[70:73], v89 offset:1024
	s_wait_dscnt 0x0
	v_pk_mul_f32 v[62:63], v[62:63], v[70:71]
	v_pk_mul_f32 v[64:65], v[64:65], v[72:73]
	ds_load_b128 v[70:73], v89 offset:16
	s_wait_dscnt 0x0
	v_fmac_f32_e32 v90, v70, v58
	s_delay_alu instid0(VALU_DEP_1) | instskip(NEXT) | instid1(VALU_DEP_1)
	v_fmac_f32_e32 v90, v71, v59
	v_fmac_f32_e32 v90, v72, v60
	s_delay_alu instid0(VALU_DEP_1)
	v_fmac_f32_e32 v90, v73, v61
	ds_load_b128 v[70:73], v89 offset:1040
	s_wait_dscnt 0x0
	v_pk_mul_f32 v[58:59], v[58:59], v[70:71]
	v_pk_mul_f32 v[60:61], v[60:61], v[72:73]
	ds_load_b128 v[70:73], v89 offset:32
	s_wait_dscnt 0x0
	v_fmac_f32_e32 v90, v70, v50
	;; [unrolled: 12-line block ×12, first 2 shown]
	s_delay_alu instid0(VALU_DEP_1) | instskip(NEXT) | instid1(VALU_DEP_1)
	v_fmac_f32_e32 v90, v71, v19
	v_fmac_f32_e32 v90, v72, v20
	s_delay_alu instid0(VALU_DEP_1)
	v_fmac_f32_e32 v90, v73, v21
	ds_load_b128 v[70:73], v89 offset:1216
	s_wait_dscnt 0x0
	v_pk_mul_f32 v[70:71], v[18:19], v[70:71]
	v_pk_mul_f32 v[72:73], v[20:21], v[72:73]
	;; [unrolled: 1-line block ×4, first 2 shown]
	ds_load_b128 v[74:77], v89 offset:1232
	v_add_f32_e32 v20, v90, v20
	s_delay_alu instid0(VALU_DEP_1) | instskip(NEXT) | instid1(VALU_DEP_1)
	v_add_f32_e32 v20, v20, v21
	v_add_f32_e32 v18, v20, v18
	s_delay_alu instid0(VALU_DEP_1)
	v_add_f32_e32 v18, v18, v19
	s_wait_dscnt 0x0
	v_pk_mul_f32 v[74:75], v[10:11], v[74:75]
	v_pk_mul_f32 v[76:77], v[12:13], v[76:77]
	;; [unrolled: 1-line block ×4, first 2 shown]
	ds_load_b128 v[78:81], v89 offset:1248
	v_add_f32_e32 v12, v18, v12
	s_delay_alu instid0(VALU_DEP_1) | instskip(NEXT) | instid1(VALU_DEP_1)
	v_add_f32_e32 v12, v12, v13
	v_add_f32_e32 v10, v12, v10
	s_delay_alu instid0(VALU_DEP_1)
	v_add_f32_e32 v10, v10, v11
	s_wait_dscnt 0x0
	v_pk_mul_f32 v[78:79], v[6:7], v[78:79]
	v_pk_mul_f32 v[80:81], v[8:9], v[80:81]
	;; [unrolled: 1-line block ×4, first 2 shown]
	ds_load_b128 v[92:95], v89 offset:1264
	v_add_f32_e32 v8, v10, v8
	s_delay_alu instid0(VALU_DEP_1) | instskip(NEXT) | instid1(VALU_DEP_1)
	v_add_f32_e32 v8, v8, v9
	v_add_f32_e32 v6, v8, v6
	s_wait_dscnt 0x0
	v_pk_mul_f32 v[92:93], v[2:3], v[92:93]
	v_add_nc_u64_e32 v[2:3], s[10:11], v[0:1]
	v_pk_mul_f32 v[82:83], v[4:5], v[94:95]
	global_load_b32 v84, v[2:3], off
	s_wait_xcnt 0x0
	ds_load_b128 v[2:5], v89 offset:512
	s_wait_loadcnt_dscnt 0x0
	v_pk_fma_f32 v[62:63], v[84:85], v[2:3], v[62:63] op_sel_hi:[0,1,1]
	v_pk_fma_f32 v[64:65], v[84:85], v[4:5], v[64:65] op_sel_hi:[0,1,1]
	ds_load_b128 v[2:5], v89 offset:528
	s_wait_dscnt 0x0
	v_pk_fma_f32 v[58:59], v[84:85], v[2:3], v[58:59] op_sel_hi:[0,1,1]
	v_pk_fma_f32 v[60:61], v[84:85], v[4:5], v[60:61] op_sel_hi:[0,1,1]
	ds_load_b128 v[2:5], v89 offset:544
	s_wait_dscnt 0x0
	;; [unrolled: 4-line block ×15, first 2 shown]
	v_pk_fma_f32 v[80:81], v[84:85], v[80:81], v[82:83] op_sel_hi:[0,1,1]
	v_add_f32_e32 v82, v6, v7
	ds_load_b128 v[6:9], v89 offset:256
	v_pk_fma_f32 v[78:79], v[84:85], v[78:79], v[92:93] op_sel_hi:[0,1,1]
	s_wait_dscnt 0x0
	v_pk_fma_f32 v[62:63], v[82:83], v[6:7], v[62:63] op_sel_hi:[0,1,1]
	v_pk_fma_f32 v[64:65], v[82:83], v[8:9], v[64:65] op_sel_hi:[0,1,1]
	ds_load_b128 v[6:9], v89 offset:272
	s_wait_dscnt 0x0
	v_pk_fma_f32 v[58:59], v[82:83], v[6:7], v[58:59] op_sel_hi:[0,1,1]
	v_pk_fma_f32 v[60:61], v[82:83], v[8:9], v[60:61] op_sel_hi:[0,1,1]
	ds_load_b128 v[6:9], v89 offset:288
	;; [unrolled: 4-line block ×14, first 2 shown]
	ds_load_b128 v[70:73], v89 offset:768
	s_wait_dscnt 0x1
	v_pk_fma_f32 v[6:7], v[82:83], v[2:3], v[74:75] op_sel_hi:[0,1,1]
	s_wait_dscnt 0x0
	v_fma_f32 v70, v62, v70, 0
	v_pk_fma_f32 v[8:9], v[82:83], v[4:5], v[76:77] op_sel_hi:[0,1,1]
	ds_load_b128 v[2:5], v89 offset:496
	v_fmac_f32_e32 v70, v63, v71
	s_delay_alu instid0(VALU_DEP_1) | instskip(NEXT) | instid1(VALU_DEP_1)
	v_fmac_f32_e32 v70, v64, v72
	v_fmac_f32_e32 v70, v65, v73
	ds_load_b128 v[72:75], v89 offset:784
	s_wait_dscnt 0x1
	v_pk_fma_f32 v[2:3], v[82:83], v[2:3], v[78:79] op_sel_hi:[0,1,1]
	v_pk_fma_f32 v[4:5], v[82:83], v[4:5], v[80:81] op_sel_hi:[0,1,1]
	s_wait_dscnt 0x0
	v_fmac_f32_e32 v70, v58, v72
	s_delay_alu instid0(VALU_DEP_1) | instskip(NEXT) | instid1(VALU_DEP_1)
	v_fmac_f32_e32 v70, v59, v73
	v_fmac_f32_e32 v70, v60, v74
	s_delay_alu instid0(VALU_DEP_1) | instskip(SKIP_3) | instid1(VALU_DEP_1)
	v_fmac_f32_e32 v70, v61, v75
	ds_load_b128 v[72:75], v89 offset:800
	s_wait_dscnt 0x0
	v_fmac_f32_e32 v70, v50, v72
	v_fmac_f32_e32 v70, v51, v73
	s_delay_alu instid0(VALU_DEP_1) | instskip(NEXT) | instid1(VALU_DEP_1)
	v_fmac_f32_e32 v70, v52, v74
	v_fmac_f32_e32 v70, v53, v75
	ds_load_b128 v[72:75], v89 offset:816
	s_wait_dscnt 0x0
	v_fmac_f32_e32 v70, v42, v72
	s_delay_alu instid0(VALU_DEP_1) | instskip(NEXT) | instid1(VALU_DEP_1)
	v_fmac_f32_e32 v70, v43, v73
	v_fmac_f32_e32 v70, v44, v74
	s_delay_alu instid0(VALU_DEP_1) | instskip(SKIP_3) | instid1(VALU_DEP_1)
	v_fmac_f32_e32 v70, v45, v75
	ds_load_b128 v[72:75], v89 offset:832
	s_wait_dscnt 0x0
	v_fmac_f32_e32 v70, v54, v72
	v_fmac_f32_e32 v70, v55, v73
	s_delay_alu instid0(VALU_DEP_1) | instskip(NEXT) | instid1(VALU_DEP_1)
	v_fmac_f32_e32 v70, v56, v74
	v_fmac_f32_e32 v70, v57, v75
	ds_load_b128 v[72:75], v89 offset:848
	;; [unrolled: 15-line block ×6, first 2 shown]
	s_wait_dscnt 0x0
	v_pk_mul_f32 v[76:77], v[10:11], v[72:73]
	v_pk_mul_f32 v[78:79], v[12:13], v[74:75]
	ds_load_b128 v[72:75], v89 offset:992
	v_add_f32_e32 v70, v70, v76
	s_delay_alu instid0(VALU_DEP_1) | instskip(NEXT) | instid1(VALU_DEP_1)
	v_add_f32_e32 v70, v70, v77
	v_add_f32_e32 v70, v70, v78
	s_delay_alu instid0(VALU_DEP_1)
	v_add_f32_e32 v70, v70, v79
	s_wait_dscnt 0x0
	v_pk_mul_f32 v[80:81], v[6:7], v[72:73]
	v_pk_mul_f32 v[82:83], v[8:9], v[74:75]
	ds_load_b128 v[72:75], v89 offset:1008
	v_add_f32_e32 v70, v70, v80
	s_delay_alu instid0(VALU_DEP_1) | instskip(NEXT) | instid1(VALU_DEP_1)
	v_add_f32_e32 v70, v70, v81
	v_add_f32_e32 v70, v70, v82
	s_delay_alu instid0(VALU_DEP_1) | instskip(SKIP_3) | instid1(VALU_DEP_2)
	v_add_f32_e32 v70, v70, v83
	s_wait_dscnt 0x0
	v_pk_mul_f32 v[72:73], v[2:3], v[72:73]
	v_pk_mul_f32 v[74:75], v[4:5], v[74:75]
	v_add_f32_e32 v70, v70, v72
	s_delay_alu instid0(VALU_DEP_1) | instskip(NEXT) | instid1(VALU_DEP_1)
	v_add_f32_e32 v70, v70, v73
	v_add_f32_e32 v70, v70, v74
	s_delay_alu instid0(VALU_DEP_1)
	v_add_f32_e32 v72, v70, v75
	v_add_nc_u64_e32 v[70:71], s[18:19], v[0:1]
	v_add_nc_u64_e32 v[0:1], s[0:1], v[0:1]
	global_store_b32 v[70:71], v72, off
	s_wait_xcnt 0x0
	s_and_not1_b32 exec_lo, exec_lo, s3
	s_cbranch_execnz .LBB2_2
; %bb.3:
	s_or_b32 exec_lo, exec_lo, s3
.LBB2_4:
	s_delay_alu instid0(SALU_CYCLE_1) | instskip(SKIP_1) | instid1(VALU_DEP_1)
	s_or_b32 exec_lo, exec_lo, s2
	v_mad_u32 v0, s22, s21, v66
	v_ashrrev_i32_e32 v1, 31, v0
	s_delay_alu instid0(VALU_DEP_1)
	v_lshl_add_u64 v[0:1], v[0:1], 2, s[18:19]
	s_wait_loadcnt 0xc
	s_clause 0x3
	global_store_b128 v[0:1], v[62:65], off
	global_store_b128 v[0:1], v[58:61], off offset:16
	global_store_b128 v[0:1], v[50:53], off offset:32
	global_store_b128 v[0:1], v[42:45], off offset:48
	s_wait_loadcnt 0x8
	s_clause 0x3
	global_store_b128 v[0:1], v[54:57], off offset:64
	global_store_b128 v[0:1], v[46:49], off offset:80
	global_store_b128 v[0:1], v[38:41], off offset:96
	global_store_b128 v[0:1], v[30:33], off offset:112
	s_wait_loadcnt 0x4
	s_clause 0x3
	global_store_b128 v[0:1], v[34:37], off offset:128
	;; [unrolled: 6-line block ×3, first 2 shown]
	global_store_b128 v[0:1], v[10:13], off offset:208
	global_store_b128 v[0:1], v[6:9], off offset:224
	;; [unrolled: 1-line block ×3, first 2 shown]
	s_sendmsg sendmsg(MSG_DEALLOC_VGPRS)
	s_endpgm
	.section	.rodata,"a",@progbits
	.p2align	6, 0x0
	.amdhsa_kernel _ZL13rwkv_wkv7_f32ILi64EEviiiiPKfS1_S1_S1_S1_S1_S1_Pf
		.amdhsa_group_segment_fixed_size 1280
		.amdhsa_private_segment_fixed_size 0
		.amdhsa_kernarg_size 80
		.amdhsa_user_sgpr_count 2
		.amdhsa_user_sgpr_dispatch_ptr 0
		.amdhsa_user_sgpr_queue_ptr 0
		.amdhsa_user_sgpr_kernarg_segment_ptr 1
		.amdhsa_user_sgpr_dispatch_id 0
		.amdhsa_user_sgpr_kernarg_preload_length 0
		.amdhsa_user_sgpr_kernarg_preload_offset 0
		.amdhsa_user_sgpr_private_segment_size 0
		.amdhsa_wavefront_size32 1
		.amdhsa_uses_dynamic_stack 0
		.amdhsa_enable_private_segment 0
		.amdhsa_system_sgpr_workgroup_id_x 1
		.amdhsa_system_sgpr_workgroup_id_y 0
		.amdhsa_system_sgpr_workgroup_id_z 0
		.amdhsa_system_sgpr_workgroup_info 0
		.amdhsa_system_vgpr_workitem_id 0
		.amdhsa_next_free_vgpr 96
		.amdhsa_next_free_sgpr 25
		.amdhsa_named_barrier_count 0
		.amdhsa_reserve_vcc 1
		.amdhsa_float_round_mode_32 0
		.amdhsa_float_round_mode_16_64 0
		.amdhsa_float_denorm_mode_32 3
		.amdhsa_float_denorm_mode_16_64 3
		.amdhsa_fp16_overflow 0
		.amdhsa_memory_ordered 1
		.amdhsa_forward_progress 1
		.amdhsa_inst_pref_size 30
		.amdhsa_round_robin_scheduling 0
		.amdhsa_exception_fp_ieee_invalid_op 0
		.amdhsa_exception_fp_denorm_src 0
		.amdhsa_exception_fp_ieee_div_zero 0
		.amdhsa_exception_fp_ieee_overflow 0
		.amdhsa_exception_fp_ieee_underflow 0
		.amdhsa_exception_fp_ieee_inexact 0
		.amdhsa_exception_int_div_zero 0
	.end_amdhsa_kernel
	.section	.text._ZL13rwkv_wkv7_f32ILi64EEviiiiPKfS1_S1_S1_S1_S1_S1_Pf,"axG",@progbits,_ZL13rwkv_wkv7_f32ILi64EEviiiiPKfS1_S1_S1_S1_S1_S1_Pf,comdat
.Lfunc_end2:
	.size	_ZL13rwkv_wkv7_f32ILi64EEviiiiPKfS1_S1_S1_S1_S1_S1_Pf, .Lfunc_end2-_ZL13rwkv_wkv7_f32ILi64EEviiiiPKfS1_S1_S1_S1_S1_S1_Pf
                                        ; -- End function
	.set _ZL13rwkv_wkv7_f32ILi64EEviiiiPKfS1_S1_S1_S1_S1_S1_Pf.num_vgpr, 96
	.set _ZL13rwkv_wkv7_f32ILi64EEviiiiPKfS1_S1_S1_S1_S1_S1_Pf.num_agpr, 0
	.set _ZL13rwkv_wkv7_f32ILi64EEviiiiPKfS1_S1_S1_S1_S1_S1_Pf.numbered_sgpr, 25
	.set _ZL13rwkv_wkv7_f32ILi64EEviiiiPKfS1_S1_S1_S1_S1_S1_Pf.num_named_barrier, 0
	.set _ZL13rwkv_wkv7_f32ILi64EEviiiiPKfS1_S1_S1_S1_S1_S1_Pf.private_seg_size, 0
	.set _ZL13rwkv_wkv7_f32ILi64EEviiiiPKfS1_S1_S1_S1_S1_S1_Pf.uses_vcc, 1
	.set _ZL13rwkv_wkv7_f32ILi64EEviiiiPKfS1_S1_S1_S1_S1_S1_Pf.uses_flat_scratch, 0
	.set _ZL13rwkv_wkv7_f32ILi64EEviiiiPKfS1_S1_S1_S1_S1_S1_Pf.has_dyn_sized_stack, 0
	.set _ZL13rwkv_wkv7_f32ILi64EEviiiiPKfS1_S1_S1_S1_S1_S1_Pf.has_recursion, 0
	.set _ZL13rwkv_wkv7_f32ILi64EEviiiiPKfS1_S1_S1_S1_S1_S1_Pf.has_indirect_call, 0
	.section	.AMDGPU.csdata,"",@progbits
; Kernel info:
; codeLenInByte = 3776
; TotalNumSgprs: 27
; NumVgprs: 96
; ScratchSize: 0
; MemoryBound: 0
; FloatMode: 240
; IeeeMode: 1
; LDSByteSize: 1280 bytes/workgroup (compile time only)
; SGPRBlocks: 0
; VGPRBlocks: 5
; NumSGPRsForWavesPerEU: 27
; NumVGPRsForWavesPerEU: 96
; NamedBarCnt: 0
; Occupancy: 10
; WaveLimiterHint : 0
; COMPUTE_PGM_RSRC2:SCRATCH_EN: 0
; COMPUTE_PGM_RSRC2:USER_SGPR: 2
; COMPUTE_PGM_RSRC2:TRAP_HANDLER: 0
; COMPUTE_PGM_RSRC2:TGID_X_EN: 1
; COMPUTE_PGM_RSRC2:TGID_Y_EN: 0
; COMPUTE_PGM_RSRC2:TGID_Z_EN: 0
; COMPUTE_PGM_RSRC2:TIDIG_COMP_CNT: 0
	.section	.text._ZL13rwkv_wkv7_f32ILi128EEviiiiPKfS1_S1_S1_S1_S1_S1_Pf,"axG",@progbits,_ZL13rwkv_wkv7_f32ILi128EEviiiiPKfS1_S1_S1_S1_S1_S1_Pf,comdat
	.globl	_ZL13rwkv_wkv7_f32ILi128EEviiiiPKfS1_S1_S1_S1_S1_S1_Pf ; -- Begin function _ZL13rwkv_wkv7_f32ILi128EEviiiiPKfS1_S1_S1_S1_S1_S1_Pf
	.p2align	8
	.type	_ZL13rwkv_wkv7_f32ILi128EEviiiiPKfS1_S1_S1_S1_S1_S1_Pf,@function
_ZL13rwkv_wkv7_f32ILi128EEviiiiPKfS1_S1_S1_S1_S1_S1_Pf: ; @_ZL13rwkv_wkv7_f32ILi128EEviiiiPKfS1_S1_S1_S1_S1_S1_Pf
; %bb.0:
	s_clause 0x1
	s_load_b128 s[20:23], s[0:1], 0x0
	s_load_b512 s[4:19], s[0:1], 0x10
	s_wait_xcnt 0x0
	s_bfe_u32 s1, ttmp6, 0x4000c
	s_and_b32 s0, ttmp6, 15
	s_add_co_i32 s1, s1, 1
	s_mov_b32 s2, 0
	s_mul_i32 s1, ttmp9, s1
	s_delay_alu instid0(SALU_CYCLE_1) | instskip(SKIP_1) | instid1(SALU_CYCLE_1)
	s_add_co_i32 s0, s0, s1
	s_getreg_b32 s1, hwreg(HW_REG_IB_STS2, 6, 4)
	s_cmp_eq_u32 s1, 0
	s_cselect_b32 s1, ttmp9, s0
	s_delay_alu instid0(SALU_CYCLE_1)
	s_abs_i32 s3, s1
	s_wait_kmcnt 0x0
	s_abs_i32 s24, s23
	s_xor_b32 s0, s1, s23
	s_cvt_f32_u32 s25, s24
	s_sub_co_i32 s26, 0, s24
	s_ashr_i32 s0, s0, 31
	s_delay_alu instid0(SALU_CYCLE_1) | instskip(SKIP_1) | instid1(TRANS32_DEP_1)
	v_rcp_iflag_f32_e32 v1, s25
	v_nop
	v_readfirstlane_b32 s25, v1
	v_lshlrev_b32_e32 v1, 7, v0
	s_mul_f32 s25, s25, 0x4f7ffffe
	s_delay_alu instid0(SALU_CYCLE_3) | instskip(NEXT) | instid1(SALU_CYCLE_3)
	s_cvt_u32_f32 s25, s25
	s_mul_i32 s26, s26, s25
	s_delay_alu instid0(SALU_CYCLE_1) | instskip(NEXT) | instid1(SALU_CYCLE_1)
	s_mul_hi_u32 s26, s25, s26
	s_add_co_i32 s25, s25, s26
	s_delay_alu instid0(SALU_CYCLE_1) | instskip(NEXT) | instid1(SALU_CYCLE_1)
	s_mul_hi_u32 s25, s3, s25
	s_mul_i32 s26, s25, s24
	s_delay_alu instid0(SALU_CYCLE_1)
	s_sub_co_i32 s3, s3, s26
	s_add_co_i32 s26, s25, 1
	s_sub_co_i32 s27, s3, s24
	s_cmp_ge_u32 s3, s24
	s_cselect_b32 s25, s26, s25
	s_cselect_b32 s3, s27, s3
	s_add_co_i32 s26, s25, 1
	s_cmp_ge_u32 s3, s24
	s_cselect_b32 s3, s26, s25
	s_delay_alu instid0(SALU_CYCLE_1) | instskip(NEXT) | instid1(SALU_CYCLE_1)
	s_xor_b32 s3, s3, s0
	s_sub_co_i32 s0, s3, s0
	s_delay_alu instid0(SALU_CYCLE_1) | instskip(NEXT) | instid1(SALU_CYCLE_1)
	s_mul_i32 s3, s0, s23
	s_sub_co_i32 s1, s1, s3
	s_mul_i32 s3, s22, s0
	s_lshl_b32 s23, s1, 14
	s_lshl_b32 s3, s3, 7
	s_delay_alu instid0(SALU_CYCLE_1) | instskip(SKIP_1) | instid1(SALU_CYCLE_1)
	v_add3_u32 v16, s23, s3, v1
	s_xor_b32 s3, s21, s20
	s_ashr_i32 s3, s3, 31
	s_delay_alu instid0(VALU_DEP_1) | instskip(NEXT) | instid1(VALU_DEP_1)
	v_ashrrev_i32_e32 v17, 31, v16
	v_lshl_add_u64 v[6:7], v[16:17], 2, s[16:17]
	s_abs_i32 s17, s20
	s_abs_i32 s16, s21
	s_cvt_f32_u32 s20, s17
	s_clause 0x2
	global_load_b128 v[22:25], v[6:7], off offset:48
	global_load_b128 v[12:15], v[6:7], off offset:32
	;; [unrolled: 1-line block ×3, first 2 shown]
	s_sub_co_i32 s23, 0, s17
	v_rcp_iflag_f32_e32 v1, s20
	v_nop
	s_delay_alu instid0(TRANS32_DEP_1) | instskip(SKIP_2) | instid1(SALU_CYCLE_3)
	v_readfirstlane_b32 s20, v1
	v_lshl_add_u32 v1, s1, 7, v0
	s_mul_f32 s20, s20, 0x4f7ffffe
	s_cvt_u32_f32 s20, s20
	s_delay_alu instid0(SALU_CYCLE_3) | instskip(NEXT) | instid1(SALU_CYCLE_1)
	s_mul_i32 s23, s23, s20
	s_mul_hi_u32 s23, s20, s23
	s_delay_alu instid0(SALU_CYCLE_1) | instskip(NEXT) | instid1(SALU_CYCLE_1)
	s_add_co_i32 s20, s20, s23
	s_mul_hi_u32 s20, s16, s20
	s_delay_alu instid0(SALU_CYCLE_1) | instskip(NEXT) | instid1(SALU_CYCLE_1)
	s_mul_i32 s23, s20, s17
	s_sub_co_i32 s16, s16, s23
	s_add_co_i32 s23, s20, 1
	s_sub_co_i32 s24, s16, s17
	s_cmp_ge_u32 s16, s17
	s_cselect_b32 s20, s23, s20
	s_cselect_b32 s16, s24, s16
	s_add_co_i32 s23, s20, 1
	s_cmp_ge_u32 s16, s17
	s_cselect_b32 s16, s23, s20
	s_delay_alu instid0(SALU_CYCLE_1) | instskip(NEXT) | instid1(SALU_CYCLE_1)
	s_xor_b32 s16, s16, s3
	s_sub_co_i32 s3, s16, s3
	s_delay_alu instid0(SALU_CYCLE_1)
	s_mul_i32 s3, s3, s22
	s_wait_loadcnt 0x0
	scratch_store_b128 off, v[2:5], off offset:16 ; 16-byte Folded Spill
	global_load_b128 v[2:5], v[6:7], off
	s_wait_loadcnt 0x0
	scratch_store_b128 off, v[2:5], off     ; 16-byte Folded Spill
	s_clause 0x18
	global_load_b128 v[110:113], v[6:7], off offset:112
	global_load_b128 v[118:121], v[6:7], off offset:96
	global_load_b128 v[122:125], v[6:7], off offset:80
	global_load_b128 v[8:11], v[6:7], off offset:64
	global_load_b128 v[94:97], v[6:7], off offset:176
	global_load_b128 v[102:105], v[6:7], off offset:160
	global_load_b128 v[106:109], v[6:7], off offset:144
	global_load_b128 v[114:117], v[6:7], off offset:128
	global_load_b128 v[78:81], v[6:7], off offset:240
	global_load_b128 v[86:89], v[6:7], off offset:224
	global_load_b128 v[90:93], v[6:7], off offset:208
	global_load_b128 v[98:101], v[6:7], off offset:192
	global_load_b128 v[62:65], v[6:7], off offset:304
	global_load_b128 v[70:73], v[6:7], off offset:288
	global_load_b128 v[74:77], v[6:7], off offset:272
	global_load_b128 v[82:85], v[6:7], off offset:256
	global_load_b128 v[46:49], v[6:7], off offset:368
	global_load_b128 v[54:57], v[6:7], off offset:352
	global_load_b128 v[58:61], v[6:7], off offset:336
	global_load_b128 v[66:69], v[6:7], off offset:320
	global_load_b128 v[30:33], v[6:7], off offset:432
	global_load_b128 v[38:41], v[6:7], off offset:416
	global_load_b128 v[42:45], v[6:7], off offset:400
	global_load_b128 v[50:53], v[6:7], off offset:384
	global_load_b128 v[18:21], v[6:7], off offset:496
	s_wait_loadcnt 0x0
	scratch_store_b128 off, v[18:21], off offset:32 ; 16-byte Folded Spill
	s_wait_xcnt 0x0
	v_mov_b64_e32 v[18:19], v[22:23]
	v_mov_b64_e32 v[20:21], v[24:25]
	s_clause 0x2
	global_load_b128 v[22:25], v[6:7], off offset:480
	global_load_b128 v[26:29], v[6:7], off offset:464
	global_load_b128 v[34:37], v[6:7], off offset:448
	s_wait_xcnt 0x0
	v_mad_u32 v6, s3, s0, v1
	s_add_co_i32 s0, s0, 1
	s_delay_alu instid0(SALU_CYCLE_1) | instskip(SKIP_1) | instid1(VALU_DEP_1)
	v_mad_u32 v1, s3, s0, v1
	s_mov_b32 s3, exec_lo
	v_cmpx_lt_i32_e64 v6, v1
	s_cbranch_execz .LBB3_4
; %bb.1:
	v_dual_lshlrev_b32 v0, 2, v0 :: v_dual_ashrrev_i32 v7, 31, v6
	scratch_store_b64 off, v[16:17], off offset:152 ; 8-byte Folded Spill
	v_mov_b32_e32 v127, 0
	s_ashr_i32 s23, s22, 31
	scratch_store_b32 off, v0, off offset:148 ; 4-byte Folded Spill
	s_wait_xcnt 0x1
	v_lshlrev_b64_e32 v[16:17], 2, v[6:7]
	s_lshl_b64 s[0:1], s[22:23], 2
	s_clause 0x3
	scratch_store_b128 off, v[18:21], off offset:72
	scratch_store_b128 off, v[8:11], off offset:88
	;; [unrolled: 1-line block ×3, first 2 shown]
	scratch_store_b32 off, v1, off offset:144
.LBB3_2:                                ; =>This Inner Loop Header: Depth=1
	s_wait_xcnt 0x0
	v_add_nc_u64_e32 v[0:1], s[4:5], v[16:17]
	s_clause 0x2
	scratch_store_b64 off, v[16:17], off offset:64
	scratch_store_b64 off, v[6:7], off offset:120
	scratch_store_b128 off, v[122:125], off offset:104
	s_wait_loadcnt 0x0
	s_wait_storecnt 0x0
	s_barrier_signal -1
	s_barrier_wait -1
	s_wait_xcnt 0x0
	v_mov_b64_e32 v[124:125], v[120:121]
	global_load_b32 v0, v[0:1], off
	scratch_load_b32 v2, off, off offset:148 ; 4-byte Folded Reload
	v_mov_b64_e32 v[122:123], v[118:119]
	v_mov_b64_e32 v[120:121], v[116:117]
	;; [unrolled: 1-line block ×49, first 2 shown]
	s_wait_loadcnt 0x0
	s_wait_xcnt 0x1
	v_add_nc_u32_e32 v1, 0x600, v2
	ds_store_b32 v1, v0
	v_add_nc_u64_e32 v[0:1], s[6:7], v[16:17]
	global_load_b32 v0, v[0:1], off
	s_wait_xcnt 0x0
	v_add_nc_u32_e32 v1, 0x800, v2
	s_wait_loadcnt 0x0
	ds_store_b32 v1, v0
	v_add_nc_u64_e32 v[0:1], s[8:9], v[16:17]
	global_load_b32 v0, v[0:1], off
	s_wait_xcnt 0x0
	v_add_nc_u32_e32 v1, 0x400, v2
	s_wait_loadcnt 0x0
	ds_store_b32 v1, v0
	v_add_nc_u64_e32 v[0:1], s[12:13], v[16:17]
	global_load_b32 v0, v[0:1], off
	s_wait_loadcnt 0x0
	ds_store_b32 v2, v0
	s_wait_xcnt 0x0
	v_add_nc_u64_e32 v[0:1], s[14:15], v[16:17]
	global_load_b32 v0, v[0:1], off
	s_wait_xcnt 0x0
	v_add_nc_u32_e32 v1, 0x200, v2
	s_wait_loadcnt 0x0
	ds_store_b32 v1, v0
	s_wait_dscnt 0x0
	s_barrier_signal -1
	s_barrier_wait -1
	ds_load_b128 v[6:9], v127
	ds_load_b128 v[10:13], v127 offset:16
	ds_load_b128 v[14:17], v127 offset:32
	s_clause 0x1
	scratch_load_b128 v[0:3], off, off
	scratch_load_b128 v[22:25], off, off offset:72 th:TH_LOAD_LU
	ds_load_b128 v[18:21], v127 offset:48
	s_wait_loadcnt_dscnt 0x103
	v_fma_f32 v126, v6, v0, 0
	scratch_load_b128 v[0:3], off, off      ; 16-byte Folded Reload
	s_wait_loadcnt 0x0
	v_fmac_f32_e32 v126, v7, v1
	scratch_load_b128 v[0:3], off, off      ; 16-byte Folded Reload
	s_wait_loadcnt 0x0
	v_fmac_f32_e32 v126, v8, v2
	;; [unrolled: 3-line block ×3, first 2 shown]
	scratch_load_b128 v[0:3], off, off offset:16 ; 16-byte Folded Reload
	ds_load_b128 v[6:9], v127 offset:64
	s_wait_loadcnt_dscnt 0x3
	v_fmac_f32_e32 v126, v10, v0
	s_delay_alu instid0(VALU_DEP_1) | instskip(NEXT) | instid1(VALU_DEP_1)
	v_fmac_f32_e32 v126, v11, v1
	v_fmac_f32_e32 v126, v12, v2
	s_delay_alu instid0(VALU_DEP_1) | instskip(SKIP_3) | instid1(VALU_DEP_1)
	v_fmac_f32_e32 v126, v13, v3
	scratch_load_b128 v[0:3], off, off offset:48 ; 16-byte Folded Reload
	s_wait_loadcnt_dscnt 0x2
	v_fmac_f32_e32 v126, v14, v0
	v_fmac_f32_e32 v126, v15, v1
	v_mov_b64_e32 v[12:13], v[26:27]
	v_mov_b64_e32 v[14:15], v[28:29]
	;; [unrolled: 1-line block ×4, first 2 shown]
	v_fmac_f32_e32 v126, v16, v2
	v_mov_b64_e32 v[30:31], v[34:35]
	v_mov_b64_e32 v[32:33], v[36:37]
	;; [unrolled: 1-line block ×4, first 2 shown]
	v_fmac_f32_e32 v126, v17, v3
	scratch_load_b128 v[2:5], off, off offset:32 ; 16-byte Folded Reload
	v_mov_b64_e32 v[38:39], v[42:43]
	v_mov_b64_e32 v[40:41], v[44:45]
	;; [unrolled: 1-line block ×3, first 2 shown]
	s_wait_dscnt 0x1
	v_fmac_f32_e32 v126, v18, v22
	v_mov_b64_e32 v[44:45], v[48:49]
	v_mov_b64_e32 v[46:47], v[50:51]
	v_mov_b64_e32 v[48:49], v[52:53]
	v_mov_b64_e32 v[50:51], v[54:55]
	v_fmac_f32_e32 v126, v19, v23
	v_mov_b64_e32 v[52:53], v[56:57]
	v_mov_b64_e32 v[54:55], v[58:59]
	v_mov_b64_e32 v[56:57], v[60:61]
	v_mov_b64_e32 v[58:59], v[62:63]
	v_fmac_f32_e32 v126, v20, v24
	v_mov_b64_e32 v[60:61], v[64:65]
	v_mov_b64_e32 v[62:63], v[66:67]
	v_mov_b64_e32 v[64:65], v[68:69]
	v_mov_b64_e32 v[66:67], v[70:71]
	v_fmac_f32_e32 v126, v21, v25
	scratch_load_b128 v[18:21], off, off offset:88 th:TH_LOAD_LU ; 16-byte Folded Reload
	v_mov_b64_e32 v[68:69], v[72:73]
	v_mov_b64_e32 v[70:71], v[74:75]
	v_mov_b64_e32 v[72:73], v[76:77]
	v_mov_b64_e32 v[74:75], v[78:79]
	v_mov_b64_e32 v[76:77], v[80:81]
	v_mov_b64_e32 v[78:79], v[82:83]
	v_mov_b64_e32 v[80:81], v[84:85]
	v_mov_b64_e32 v[82:83], v[86:87]
	v_mov_b64_e32 v[84:85], v[88:89]
	v_mov_b64_e32 v[86:87], v[90:91]
	v_mov_b64_e32 v[88:89], v[92:93]
	v_mov_b64_e32 v[90:91], v[94:95]
	v_mov_b64_e32 v[92:93], v[96:97]
	v_mov_b64_e32 v[94:95], v[98:99]
	v_mov_b64_e32 v[96:97], v[100:101]
	v_mov_b64_e32 v[98:99], v[102:103]
	v_mov_b64_e32 v[100:101], v[104:105]
	v_mov_b64_e32 v[102:103], v[106:107]
	v_mov_b64_e32 v[104:105], v[108:109]
	v_mov_b64_e32 v[106:107], v[110:111]
	v_mov_b64_e32 v[108:109], v[112:113]
	v_mov_b64_e32 v[110:111], v[114:115]
	v_mov_b64_e32 v[112:113], v[116:117]
	v_mov_b64_e32 v[114:115], v[118:119]
	v_mov_b64_e32 v[116:117], v[120:121]
	v_mov_b64_e32 v[118:119], v[122:123]
	v_mov_b64_e32 v[120:121], v[124:125]
	s_clause 0x1
	scratch_load_b128 v[122:125], off, off offset:104 th:TH_LOAD_LU
	scratch_store_b128 off, v[12:15], off offset:128
	s_wait_loadcnt 0x2
	scratch_store_b128 off, v[2:5], off offset:32 ; 16-byte Folded Spill
	s_wait_loadcnt_dscnt 0x100
	v_fmac_f32_e32 v126, v6, v18
	s_delay_alu instid0(VALU_DEP_1) | instskip(NEXT) | instid1(VALU_DEP_1)
	v_fmac_f32_e32 v126, v7, v19
	v_fmac_f32_e32 v126, v8, v20
	s_delay_alu instid0(VALU_DEP_1) | instskip(SKIP_3) | instid1(VALU_DEP_1)
	v_fmac_f32_e32 v126, v9, v21
	ds_load_b128 v[6:9], v127 offset:80
	s_wait_loadcnt_dscnt 0x0
	v_fmac_f32_e32 v126, v6, v122
	v_fmac_f32_e32 v126, v7, v123
	s_delay_alu instid0(VALU_DEP_1) | instskip(NEXT) | instid1(VALU_DEP_1)
	v_fmac_f32_e32 v126, v8, v124
	v_fmac_f32_e32 v126, v9, v125
	ds_load_b128 v[6:9], v127 offset:96
	s_wait_dscnt 0x0
	v_fmac_f32_e32 v126, v6, v118
	s_delay_alu instid0(VALU_DEP_1) | instskip(NEXT) | instid1(VALU_DEP_1)
	v_fmac_f32_e32 v126, v7, v119
	v_fmac_f32_e32 v126, v8, v120
	s_delay_alu instid0(VALU_DEP_1) | instskip(SKIP_3) | instid1(VALU_DEP_1)
	v_fmac_f32_e32 v126, v9, v121
	ds_load_b128 v[6:9], v127 offset:112
	s_wait_dscnt 0x0
	v_fmac_f32_e32 v126, v6, v110
	v_fmac_f32_e32 v126, v7, v111
	s_delay_alu instid0(VALU_DEP_1) | instskip(NEXT) | instid1(VALU_DEP_1)
	v_fmac_f32_e32 v126, v8, v112
	v_fmac_f32_e32 v126, v9, v113
	ds_load_b128 v[6:9], v127 offset:128
	s_wait_dscnt 0x0
	v_fmac_f32_e32 v126, v6, v114
	s_delay_alu instid0(VALU_DEP_1) | instskip(NEXT) | instid1(VALU_DEP_1)
	v_fmac_f32_e32 v126, v7, v115
	v_fmac_f32_e32 v126, v8, v116
	s_delay_alu instid0(VALU_DEP_1) | instskip(SKIP_3) | instid1(VALU_DEP_1)
	v_fmac_f32_e32 v126, v9, v117
	ds_load_b128 v[6:9], v127 offset:144
	s_wait_dscnt 0x0
	;; [unrolled: 15-line block ×12, first 2 shown]
	v_pk_mul_f32 v[0:1], v[6:7], v[26:27]
	v_add_f32_e32 v0, v126, v0
	s_delay_alu instid0(VALU_DEP_1) | instskip(SKIP_1) | instid1(VALU_DEP_1)
	v_add_f32_e32 v6, v0, v1
	v_pk_mul_f32 v[0:1], v[8:9], v[28:29]
	v_add_f32_e32 v0, v6, v0
	ds_load_b128 v[6:9], v127 offset:480
	v_add_f32_e32 v10, v0, v1
	s_wait_dscnt 0x0
	v_pk_mul_f32 v[0:1], v[6:7], v[12:13]
	s_delay_alu instid0(VALU_DEP_1) | instskip(NEXT) | instid1(VALU_DEP_1)
	v_add_f32_e32 v0, v10, v0
	v_add_f32_e32 v6, v0, v1
	v_pk_mul_f32 v[0:1], v[8:9], v[14:15]
	s_delay_alu instid0(VALU_DEP_1) | instskip(SKIP_4) | instid1(VALU_DEP_1)
	v_add_f32_e32 v0, v6, v0
	ds_load_b128 v[6:9], v127 offset:496
	v_add_f32_e32 v10, v0, v1
	s_wait_dscnt 0x0
	v_pk_mul_f32 v[0:1], v[6:7], v[2:3]
	v_add_f32_e32 v0, v10, v0
	s_delay_alu instid0(VALU_DEP_1) | instskip(SKIP_1) | instid1(VALU_DEP_1)
	v_add_f32_e32 v6, v0, v1
	v_pk_mul_f32 v[0:1], v[8:9], v[4:5]
	v_add_f32_e32 v0, v6, v0
	s_delay_alu instid0(VALU_DEP_1)
	v_add_f32_e32 v126, v0, v1
	scratch_load_b64 v[0:1], off, off offset:64 ; 8-byte Folded Reload
	s_wait_loadcnt 0x0
	v_add_nc_u64_e32 v[0:1], s[10:11], v[0:1]
	global_load_b32 v0, v[0:1], off
	ds_load_b128 v[6:9], v127 offset:1024
	s_wait_xcnt 0x3
	ds_load_b128 v[10:13], v127 offset:2048
	scratch_load_b128 v[2:5], off, off      ; 16-byte Folded Reload
	ds_load_b128 v[14:17], v127 offset:512
	s_wait_loadcnt_dscnt 0x1
	v_pk_mul_f32 v[2:3], v[2:3], v[10:11]
	s_delay_alu instid0(VALU_DEP_1)
	v_pk_fma_f32 v[2:3], v[0:1], v[6:7], v[2:3] op_sel_hi:[0,1,1]
	scratch_load_b128 v[4:7], off, off      ; 16-byte Folded Reload
	s_wait_loadcnt_dscnt 0x0
	v_pk_fma_f32 v[4:5], v[126:127], v[14:15], v[2:3] op_sel_hi:[0,1,1]
	s_clause 0x1
	scratch_store_b128 off, v[4:7], off
	scratch_load_b128 v[2:5], off, off
	s_wait_loadcnt 0x0
	v_pk_mul_f32 v[4:5], v[4:5], v[12:13]
	s_delay_alu instid0(VALU_DEP_1)
	v_pk_fma_f32 v[4:5], v[0:1], v[8:9], v[4:5] op_sel_hi:[0,1,1]
	scratch_load_b128 v[6:9], off, off      ; 16-byte Folded Reload
	s_wait_loadcnt 0x0
	v_pk_fma_f32 v[8:9], v[126:127], v[16:17], v[4:5] op_sel_hi:[0,1,1]
	s_clause 0x1
	scratch_store_b128 off, v[6:9], off
	scratch_load_b128 v[2:5], off, off
	s_wait_xcnt 0x1
	ds_load_b128 v[6:9], v127 offset:1536
	s_wait_loadcnt_dscnt 0x0
	v_fma_f32 v1, v2, v6, 0
	s_delay_alu instid0(VALU_DEP_1) | instskip(NEXT) | instid1(VALU_DEP_1)
	v_fmac_f32_e32 v1, v3, v7
	v_fmac_f32_e32 v1, v4, v8
	s_delay_alu instid0(VALU_DEP_1)
	v_fmac_f32_e32 v1, v5, v9
	ds_load_b128 v[6:9], v127 offset:1040
	ds_load_b128 v[10:13], v127 offset:2064
	scratch_load_b128 v[2:5], off, off offset:16 th:TH_LOAD_LU ; 16-byte Folded Reload
	ds_load_b128 v[14:17], v127 offset:528
	s_wait_loadcnt_dscnt 0x1
	v_pk_mul_f32 v[10:11], v[2:3], v[10:11]
	s_delay_alu instid0(VALU_DEP_1) | instskip(SKIP_1) | instid1(VALU_DEP_1)
	v_pk_fma_f32 v[6:7], v[0:1], v[6:7], v[10:11] op_sel_hi:[0,1,1]
	s_wait_dscnt 0x0
	v_pk_fma_f32 v[2:3], v[126:127], v[14:15], v[6:7] op_sel_hi:[0,1,1]
	v_pk_mul_f32 v[6:7], v[4:5], v[12:13]
	s_delay_alu instid0(VALU_DEP_1) | instskip(NEXT) | instid1(VALU_DEP_1)
	v_pk_fma_f32 v[6:7], v[0:1], v[8:9], v[6:7] op_sel_hi:[0,1,1]
	v_pk_fma_f32 v[4:5], v[126:127], v[16:17], v[6:7] op_sel_hi:[0,1,1]
	ds_load_b128 v[6:9], v127 offset:1552
	scratch_store_b128 off, v[2:5], off offset:16 ; 16-byte Folded Spill
	s_wait_dscnt 0x0
	v_fmac_f32_e32 v1, v2, v6
	s_delay_alu instid0(VALU_DEP_1) | instskip(NEXT) | instid1(VALU_DEP_1)
	v_fmac_f32_e32 v1, v3, v7
	v_fmac_f32_e32 v1, v4, v8
	s_delay_alu instid0(VALU_DEP_1)
	v_fmac_f32_e32 v1, v5, v9
	ds_load_b128 v[6:9], v127 offset:1056
	ds_load_b128 v[10:13], v127 offset:2080
	scratch_load_b128 v[2:5], off, off offset:48 th:TH_LOAD_LU ; 16-byte Folded Reload
	ds_load_b128 v[14:17], v127 offset:544
	s_wait_loadcnt_dscnt 0x1
	v_pk_mul_f32 v[10:11], v[2:3], v[10:11]
	s_delay_alu instid0(VALU_DEP_1) | instskip(SKIP_1) | instid1(VALU_DEP_1)
	v_pk_fma_f32 v[6:7], v[0:1], v[6:7], v[10:11] op_sel_hi:[0,1,1]
	s_wait_dscnt 0x0
	v_pk_fma_f32 v[2:3], v[126:127], v[14:15], v[6:7] op_sel_hi:[0,1,1]
	v_pk_mul_f32 v[6:7], v[4:5], v[12:13]
	s_delay_alu instid0(VALU_DEP_1) | instskip(NEXT) | instid1(VALU_DEP_1)
	v_pk_fma_f32 v[6:7], v[0:1], v[8:9], v[6:7] op_sel_hi:[0,1,1]
	v_pk_fma_f32 v[4:5], v[126:127], v[16:17], v[6:7] op_sel_hi:[0,1,1]
	ds_load_b128 v[6:9], v127 offset:1568
	scratch_store_b128 off, v[2:5], off offset:48 ; 16-byte Folded Spill
	s_wait_dscnt 0x0
	v_fmac_f32_e32 v1, v2, v6
	s_delay_alu instid0(VALU_DEP_1) | instskip(NEXT) | instid1(VALU_DEP_1)
	v_fmac_f32_e32 v1, v3, v7
	v_fmac_f32_e32 v1, v4, v8
	s_delay_alu instid0(VALU_DEP_1)
	v_fmac_f32_e32 v1, v5, v9
	ds_load_b128 v[6:9], v127 offset:1072
	ds_load_b128 v[10:13], v127 offset:2096
	ds_load_b128 v[14:17], v127 offset:560
	s_wait_dscnt 0x1
	v_pk_mul_f32 v[10:11], v[22:23], v[10:11]
	s_delay_alu instid0(VALU_DEP_1) | instskip(SKIP_1) | instid1(VALU_DEP_1)
	v_pk_fma_f32 v[6:7], v[0:1], v[6:7], v[10:11] op_sel_hi:[0,1,1]
	s_wait_dscnt 0x0
	v_pk_fma_f32 v[22:23], v[126:127], v[14:15], v[6:7] op_sel_hi:[0,1,1]
	v_pk_mul_f32 v[6:7], v[24:25], v[12:13]
	s_delay_alu instid0(VALU_DEP_1) | instskip(NEXT) | instid1(VALU_DEP_1)
	v_pk_fma_f32 v[6:7], v[0:1], v[8:9], v[6:7] op_sel_hi:[0,1,1]
	v_pk_fma_f32 v[24:25], v[126:127], v[16:17], v[6:7] op_sel_hi:[0,1,1]
	ds_load_b128 v[6:9], v127 offset:1584
	scratch_store_b128 off, v[22:25], off offset:72 ; 16-byte Folded Spill
	s_wait_dscnt 0x0
	v_fmac_f32_e32 v1, v22, v6
	s_delay_alu instid0(VALU_DEP_1) | instskip(NEXT) | instid1(VALU_DEP_1)
	v_fmac_f32_e32 v1, v23, v7
	v_fmac_f32_e32 v1, v24, v8
	s_delay_alu instid0(VALU_DEP_1)
	v_fmac_f32_e32 v1, v25, v9
	ds_load_b128 v[6:9], v127 offset:1088
	ds_load_b128 v[10:13], v127 offset:2112
	ds_load_b128 v[14:17], v127 offset:576
	s_wait_dscnt 0x1
	;; [unrolled: 22-line block ×3, first 2 shown]
	v_pk_mul_f32 v[10:11], v[122:123], v[10:11]
	s_delay_alu instid0(VALU_DEP_1) | instskip(SKIP_1) | instid1(VALU_DEP_1)
	v_pk_fma_f32 v[6:7], v[0:1], v[6:7], v[10:11] op_sel_hi:[0,1,1]
	s_wait_dscnt 0x0
	v_pk_fma_f32 v[122:123], v[126:127], v[14:15], v[6:7] op_sel_hi:[0,1,1]
	v_pk_mul_f32 v[6:7], v[124:125], v[12:13]
	s_delay_alu instid0(VALU_DEP_1) | instskip(NEXT) | instid1(VALU_DEP_1)
	v_pk_fma_f32 v[6:7], v[0:1], v[8:9], v[6:7] op_sel_hi:[0,1,1]
	v_pk_fma_f32 v[124:125], v[126:127], v[16:17], v[6:7] op_sel_hi:[0,1,1]
	ds_load_b128 v[6:9], v127 offset:1616
	s_wait_dscnt 0x0
	v_fmac_f32_e32 v1, v122, v6
	s_delay_alu instid0(VALU_DEP_1) | instskip(NEXT) | instid1(VALU_DEP_1)
	v_fmac_f32_e32 v1, v123, v7
	v_fmac_f32_e32 v1, v124, v8
	s_delay_alu instid0(VALU_DEP_1)
	v_fmac_f32_e32 v1, v125, v9
	ds_load_b128 v[6:9], v127 offset:1120
	ds_load_b128 v[10:13], v127 offset:2144
	ds_load_b128 v[14:17], v127 offset:608
	s_wait_dscnt 0x1
	v_pk_mul_f32 v[10:11], v[118:119], v[10:11]
	s_delay_alu instid0(VALU_DEP_1) | instskip(SKIP_1) | instid1(VALU_DEP_1)
	v_pk_fma_f32 v[6:7], v[0:1], v[6:7], v[10:11] op_sel_hi:[0,1,1]
	s_wait_dscnt 0x0
	v_pk_fma_f32 v[118:119], v[126:127], v[14:15], v[6:7] op_sel_hi:[0,1,1]
	v_pk_mul_f32 v[6:7], v[120:121], v[12:13]
	s_delay_alu instid0(VALU_DEP_1) | instskip(NEXT) | instid1(VALU_DEP_1)
	v_pk_fma_f32 v[6:7], v[0:1], v[8:9], v[6:7] op_sel_hi:[0,1,1]
	v_pk_fma_f32 v[120:121], v[126:127], v[16:17], v[6:7] op_sel_hi:[0,1,1]
	ds_load_b128 v[6:9], v127 offset:1632
	s_wait_dscnt 0x0
	v_fmac_f32_e32 v1, v118, v6
	s_delay_alu instid0(VALU_DEP_1) | instskip(NEXT) | instid1(VALU_DEP_1)
	v_fmac_f32_e32 v1, v119, v7
	v_fmac_f32_e32 v1, v120, v8
	s_delay_alu instid0(VALU_DEP_1)
	v_fmac_f32_e32 v1, v121, v9
	ds_load_b128 v[6:9], v127 offset:1136
	ds_load_b128 v[10:13], v127 offset:2160
	ds_load_b128 v[14:17], v127 offset:624
	s_wait_dscnt 0x1
	;; [unrolled: 21-line block ×24, first 2 shown]
	v_pk_mul_f32 v[10:11], v[26:27], v[10:11]
	s_delay_alu instid0(VALU_DEP_1) | instskip(SKIP_1) | instid1(VALU_DEP_1)
	v_pk_fma_f32 v[6:7], v[0:1], v[6:7], v[10:11] op_sel_hi:[0,1,1]
	s_wait_dscnt 0x0
	v_pk_fma_f32 v[26:27], v[126:127], v[14:15], v[6:7] op_sel_hi:[0,1,1]
	v_pk_mul_f32 v[6:7], v[28:29], v[12:13]
	s_delay_alu instid0(VALU_DEP_1) | instskip(NEXT) | instid1(VALU_DEP_1)
	v_pk_fma_f32 v[6:7], v[0:1], v[8:9], v[6:7] op_sel_hi:[0,1,1]
	v_pk_fma_f32 v[28:29], v[126:127], v[16:17], v[6:7] op_sel_hi:[0,1,1]
	ds_load_b128 v[6:9], v127 offset:2000
	s_wait_dscnt 0x0
	v_pk_mul_f32 v[6:7], v[26:27], v[6:7]
	s_delay_alu instid0(VALU_DEP_1) | instskip(NEXT) | instid1(VALU_DEP_1)
	v_add_f32_e32 v1, v1, v6
	v_add_f32_e32 v1, v1, v7
	v_pk_mul_f32 v[6:7], v[28:29], v[8:9]
	s_delay_alu instid0(VALU_DEP_1) | instskip(NEXT) | instid1(VALU_DEP_1)
	v_add_f32_e32 v1, v1, v6
	v_add_f32_e32 v1, v1, v7
	ds_load_b128 v[6:9], v127 offset:1504
	ds_load_b128 v[10:13], v127 offset:2528
	scratch_load_b128 v[18:21], off, off offset:128 th:TH_LOAD_LU ; 16-byte Folded Reload
	ds_load_b128 v[14:17], v127 offset:992
	s_wait_loadcnt_dscnt 0x1
	v_pk_mul_f32 v[10:11], v[18:19], v[10:11]
	s_delay_alu instid0(VALU_DEP_1) | instskip(SKIP_1) | instid1(VALU_DEP_1)
	v_pk_fma_f32 v[6:7], v[0:1], v[6:7], v[10:11] op_sel_hi:[0,1,1]
	s_wait_dscnt 0x0
	v_pk_fma_f32 v[18:19], v[126:127], v[14:15], v[6:7] op_sel_hi:[0,1,1]
	v_pk_mul_f32 v[6:7], v[20:21], v[12:13]
	s_delay_alu instid0(VALU_DEP_1) | instskip(NEXT) | instid1(VALU_DEP_1)
	v_pk_fma_f32 v[6:7], v[0:1], v[8:9], v[6:7] op_sel_hi:[0,1,1]
	v_pk_fma_f32 v[20:21], v[126:127], v[16:17], v[6:7] op_sel_hi:[0,1,1]
	ds_load_b128 v[6:9], v127 offset:2016
	v_mov_b64_e32 v[24:25], v[20:21]
	v_mov_b64_e32 v[22:23], v[18:19]
	s_wait_dscnt 0x0
	v_pk_mul_f32 v[6:7], v[18:19], v[6:7]
	s_delay_alu instid0(VALU_DEP_1) | instskip(NEXT) | instid1(VALU_DEP_1)
	v_add_f32_e32 v1, v1, v6
	v_add_f32_e32 v1, v1, v7
	v_pk_mul_f32 v[6:7], v[20:21], v[8:9]
	s_delay_alu instid0(VALU_DEP_1) | instskip(NEXT) | instid1(VALU_DEP_1)
	v_add_f32_e32 v1, v1, v6
	v_add_f32_e32 v1, v1, v7
	scratch_store_b32 off, v1, off offset:104 ; 4-byte Folded Spill
	ds_load_b128 v[10:13], v127 offset:1520
	ds_load_b128 v[14:17], v127 offset:2544
	scratch_load_b128 v[18:21], off, off offset:32 th:TH_LOAD_LU ; 16-byte Folded Reload
	s_wait_loadcnt_dscnt 0x0
	v_pk_mul_f32 v[6:7], v[18:19], v[14:15]
	s_delay_alu instid0(VALU_DEP_1)
	v_pk_fma_f32 v[10:11], v[0:1], v[10:11], v[6:7] op_sel_hi:[0,1,1]
	ds_load_b128 v[6:9], v127 offset:1008
	s_wait_dscnt 0x0
	v_pk_fma_f32 v[18:19], v[126:127], v[6:7], v[10:11] op_sel_hi:[0,1,1]
	v_pk_mul_f32 v[6:7], v[20:21], v[16:17]
	scratch_load_b64 v[16:17], off, off offset:64 th:TH_LOAD_LU ; 8-byte Folded Reload
	s_wait_xcnt 0x2
	v_pk_fma_f32 v[0:1], v[0:1], v[12:13], v[6:7] op_sel_hi:[0,1,1]
	s_delay_alu instid0(VALU_DEP_1)
	v_pk_fma_f32 v[20:21], v[126:127], v[8:9], v[0:1] op_sel_hi:[0,1,1]
	ds_load_b128 v[6:9], v127 offset:2032
	scratch_store_b128 off, v[18:21], off offset:32 ; 16-byte Folded Spill
	s_wait_dscnt 0x0
	v_pk_mul_f32 v[0:1], v[18:19], v[6:7]
	scratch_load_b32 v6, off, off offset:104 th:TH_LOAD_LU ; 4-byte Folded Reload
	s_wait_loadcnt 0x0
	v_add_f32_e32 v0, v6, v0
	s_delay_alu instid0(VALU_DEP_1) | instskip(SKIP_1) | instid1(VALU_DEP_1)
	v_add_f32_e32 v6, v0, v1
	v_pk_mul_f32 v[0:1], v[20:21], v[8:9]
	v_add_f32_e32 v0, v6, v0
	s_delay_alu instid0(VALU_DEP_1)
	v_add_f32_e32 v6, v0, v1
	v_add_nc_u64_e32 v[0:1], s[18:19], v[16:17]
	v_add_nc_u64_e32 v[16:17], s[0:1], v[16:17]
	global_store_b32 v[0:1], v6, off
	s_clause 0x1
	scratch_load_b32 v1, off, off offset:144
	scratch_load_b64 v[6:7], off, off offset:120 th:TH_LOAD_LU
	s_wait_loadcnt 0x0
	v_add_nc_u32_e32 v6, s22, v6
	s_delay_alu instid0(VALU_DEP_1)
	v_cmp_ge_i32_e32 vcc_lo, v6, v1
	s_or_b32 s2, vcc_lo, s2
	s_wait_xcnt 0x0
	s_and_not1_b32 exec_lo, exec_lo, s2
	s_cbranch_execnz .LBB3_2
; %bb.3:
	s_or_b32 exec_lo, exec_lo, s2
	s_clause 0x3
	scratch_load_b128 v[18:21], off, off offset:72
	scratch_load_b128 v[8:11], off, off offset:88
	;; [unrolled: 1-line block ×3, first 2 shown]
	scratch_load_b64 v[16:17], off, off offset:152
.LBB3_4:
	s_wait_xcnt 0x0
	s_or_b32 exec_lo, exec_lo, s3
	scratch_load_b128 v[2:5], off, off th:TH_LOAD_LU ; 16-byte Folded Reload
	s_wait_loadcnt 0x1
	v_mad_u32 v0, s22, s21, v16
	s_delay_alu instid0(VALU_DEP_1) | instskip(NEXT) | instid1(VALU_DEP_1)
	v_ashrrev_i32_e32 v1, 31, v0
	v_lshl_add_u64 v[0:1], v[0:1], 2, s[18:19]
	s_wait_loadcnt 0x0
	global_store_b128 v[0:1], v[2:5], off
	scratch_load_b128 v[2:5], off, off offset:16 th:TH_LOAD_LU ; 16-byte Folded Reload
	s_wait_loadcnt 0x0
	s_clause 0x1d
	global_store_b128 v[0:1], v[2:5], off offset:16
	global_store_b128 v[0:1], v[12:15], off offset:32
	;; [unrolled: 1-line block ×30, first 2 shown]
	scratch_load_b128 v[2:5], off, off offset:32 th:TH_LOAD_LU ; 16-byte Folded Reload
	s_wait_loadcnt 0x0
	global_store_b128 v[0:1], v[2:5], off offset:496
	s_sendmsg sendmsg(MSG_DEALLOC_VGPRS)
	s_endpgm
	.section	.rodata,"a",@progbits
	.p2align	6, 0x0
	.amdhsa_kernel _ZL13rwkv_wkv7_f32ILi128EEviiiiPKfS1_S1_S1_S1_S1_S1_Pf
		.amdhsa_group_segment_fixed_size 2560
		.amdhsa_private_segment_fixed_size 164
		.amdhsa_kernarg_size 80
		.amdhsa_user_sgpr_count 2
		.amdhsa_user_sgpr_dispatch_ptr 0
		.amdhsa_user_sgpr_queue_ptr 0
		.amdhsa_user_sgpr_kernarg_segment_ptr 1
		.amdhsa_user_sgpr_dispatch_id 0
		.amdhsa_user_sgpr_kernarg_preload_length 0
		.amdhsa_user_sgpr_kernarg_preload_offset 0
		.amdhsa_user_sgpr_private_segment_size 0
		.amdhsa_wavefront_size32 1
		.amdhsa_uses_dynamic_stack 0
		.amdhsa_enable_private_segment 1
		.amdhsa_system_sgpr_workgroup_id_x 1
		.amdhsa_system_sgpr_workgroup_id_y 0
		.amdhsa_system_sgpr_workgroup_id_z 0
		.amdhsa_system_sgpr_workgroup_info 0
		.amdhsa_system_vgpr_workitem_id 0
		.amdhsa_next_free_vgpr 128
		.amdhsa_next_free_sgpr 28
		.amdhsa_named_barrier_count 0
		.amdhsa_reserve_vcc 1
		.amdhsa_float_round_mode_32 0
		.amdhsa_float_round_mode_16_64 0
		.amdhsa_float_denorm_mode_32 3
		.amdhsa_float_denorm_mode_16_64 3
		.amdhsa_fp16_overflow 0
		.amdhsa_memory_ordered 1
		.amdhsa_forward_progress 1
		.amdhsa_inst_pref_size 62
		.amdhsa_round_robin_scheduling 0
		.amdhsa_exception_fp_ieee_invalid_op 0
		.amdhsa_exception_fp_denorm_src 0
		.amdhsa_exception_fp_ieee_div_zero 0
		.amdhsa_exception_fp_ieee_overflow 0
		.amdhsa_exception_fp_ieee_underflow 0
		.amdhsa_exception_fp_ieee_inexact 0
		.amdhsa_exception_int_div_zero 0
	.end_amdhsa_kernel
	.section	.text._ZL13rwkv_wkv7_f32ILi128EEviiiiPKfS1_S1_S1_S1_S1_S1_Pf,"axG",@progbits,_ZL13rwkv_wkv7_f32ILi128EEviiiiPKfS1_S1_S1_S1_S1_S1_Pf,comdat
.Lfunc_end3:
	.size	_ZL13rwkv_wkv7_f32ILi128EEviiiiPKfS1_S1_S1_S1_S1_S1_Pf, .Lfunc_end3-_ZL13rwkv_wkv7_f32ILi128EEviiiiPKfS1_S1_S1_S1_S1_S1_Pf
                                        ; -- End function
	.set _ZL13rwkv_wkv7_f32ILi128EEviiiiPKfS1_S1_S1_S1_S1_S1_Pf.num_vgpr, 128
	.set _ZL13rwkv_wkv7_f32ILi128EEviiiiPKfS1_S1_S1_S1_S1_S1_Pf.num_agpr, 0
	.set _ZL13rwkv_wkv7_f32ILi128EEviiiiPKfS1_S1_S1_S1_S1_S1_Pf.numbered_sgpr, 28
	.set _ZL13rwkv_wkv7_f32ILi128EEviiiiPKfS1_S1_S1_S1_S1_S1_Pf.num_named_barrier, 0
	.set _ZL13rwkv_wkv7_f32ILi128EEviiiiPKfS1_S1_S1_S1_S1_S1_Pf.private_seg_size, 164
	.set _ZL13rwkv_wkv7_f32ILi128EEviiiiPKfS1_S1_S1_S1_S1_S1_Pf.uses_vcc, 1
	.set _ZL13rwkv_wkv7_f32ILi128EEviiiiPKfS1_S1_S1_S1_S1_S1_Pf.uses_flat_scratch, 1
	.set _ZL13rwkv_wkv7_f32ILi128EEviiiiPKfS1_S1_S1_S1_S1_S1_Pf.has_dyn_sized_stack, 0
	.set _ZL13rwkv_wkv7_f32ILi128EEviiiiPKfS1_S1_S1_S1_S1_S1_Pf.has_recursion, 0
	.set _ZL13rwkv_wkv7_f32ILi128EEviiiiPKfS1_S1_S1_S1_S1_S1_Pf.has_indirect_call, 0
	.section	.AMDGPU.csdata,"",@progbits
; Kernel info:
; codeLenInByte = 7936
; TotalNumSgprs: 30
; NumVgprs: 128
; ScratchSize: 164
; MemoryBound: 1
; FloatMode: 240
; IeeeMode: 1
; LDSByteSize: 2560 bytes/workgroup (compile time only)
; SGPRBlocks: 0
; VGPRBlocks: 7
; NumSGPRsForWavesPerEU: 30
; NumVGPRsForWavesPerEU: 128
; NamedBarCnt: 0
; Occupancy: 8
; WaveLimiterHint : 0
; COMPUTE_PGM_RSRC2:SCRATCH_EN: 1
; COMPUTE_PGM_RSRC2:USER_SGPR: 2
; COMPUTE_PGM_RSRC2:TRAP_HANDLER: 0
; COMPUTE_PGM_RSRC2:TGID_X_EN: 1
; COMPUTE_PGM_RSRC2:TGID_Y_EN: 0
; COMPUTE_PGM_RSRC2:TGID_Z_EN: 0
; COMPUTE_PGM_RSRC2:TIDIG_COMP_CNT: 0
	.section	.AMDGPU.gpr_maximums,"",@progbits
	.set amdgpu.max_num_vgpr, 0
	.set amdgpu.max_num_agpr, 0
	.set amdgpu.max_num_sgpr, 0
	.section	.AMDGPU.csdata,"",@progbits
	.type	__hip_cuid_4d9c3ae2e6853e57,@object ; @__hip_cuid_4d9c3ae2e6853e57
	.section	.bss,"aw",@nobits
	.globl	__hip_cuid_4d9c3ae2e6853e57
__hip_cuid_4d9c3ae2e6853e57:
	.byte	0                               ; 0x0
	.size	__hip_cuid_4d9c3ae2e6853e57, 1

	.ident	"AMD clang version 22.0.0git (https://github.com/RadeonOpenCompute/llvm-project roc-7.2.4 26084 f58b06dce1f9c15707c5f808fd002e18c2accf7e)"
	.section	".note.GNU-stack","",@progbits
	.addrsig
	.addrsig_sym __hip_cuid_4d9c3ae2e6853e57
	.amdgpu_metadata
---
amdhsa.kernels:
  - .args:
      - .offset:         0
        .size:           4
        .value_kind:     by_value
      - .offset:         4
        .size:           4
        .value_kind:     by_value
      - .offset:         8
        .size:           4
        .value_kind:     by_value
      - .offset:         12
        .size:           4
        .value_kind:     by_value
      - .address_space:  global
        .offset:         16
        .size:           8
        .value_kind:     global_buffer
      - .address_space:  global
        .offset:         24
        .size:           8
        .value_kind:     global_buffer
      - .address_space:  global
        .offset:         32
        .size:           8
        .value_kind:     global_buffer
      - .address_space:  global
        .offset:         40
        .size:           8
        .value_kind:     global_buffer
      - .address_space:  global
        .offset:         48
        .size:           8
        .value_kind:     global_buffer
      - .address_space:  global
        .offset:         56
        .size:           8
        .value_kind:     global_buffer
      - .address_space:  global
        .offset:         64
        .size:           8
        .value_kind:     global_buffer
    .group_segment_fixed_size: 1024
    .kernarg_segment_align: 8
    .kernarg_segment_size: 72
    .language:       OpenCL C
    .language_version:
      - 2
      - 0
    .max_flat_workgroup_size: 1024
    .name:           _ZL12rwkv_wkv_f32ILi64EEviiiiPKfS1_S1_S1_S1_S1_Pf
    .private_segment_fixed_size: 0
    .sgpr_count:     26
    .sgpr_spill_count: 0
    .symbol:         _ZL12rwkv_wkv_f32ILi64EEviiiiPKfS1_S1_S1_S1_S1_Pf.kd
    .uniform_work_group_size: 1
    .uses_dynamic_stack: false
    .vgpr_count:     102
    .vgpr_spill_count: 0
    .wavefront_size: 32
  - .args:
      - .offset:         0
        .size:           4
        .value_kind:     by_value
      - .offset:         4
        .size:           4
        .value_kind:     by_value
      - .offset:         8
        .size:           4
        .value_kind:     by_value
      - .offset:         12
        .size:           4
        .value_kind:     by_value
      - .address_space:  global
        .offset:         16
        .size:           8
        .value_kind:     global_buffer
      - .address_space:  global
        .offset:         24
        .size:           8
        .value_kind:     global_buffer
      - .address_space:  global
        .offset:         32
        .size:           8
        .value_kind:     global_buffer
      - .address_space:  global
        .offset:         40
        .size:           8
        .value_kind:     global_buffer
      - .address_space:  global
        .offset:         48
        .size:           8
        .value_kind:     global_buffer
      - .address_space:  global
        .offset:         56
        .size:           8
        .value_kind:     global_buffer
      - .address_space:  global
        .offset:         64
        .size:           8
        .value_kind:     global_buffer
    .group_segment_fixed_size: 2048
    .kernarg_segment_align: 8
    .kernarg_segment_size: 72
    .language:       OpenCL C
    .language_version:
      - 2
      - 0
    .max_flat_workgroup_size: 1024
    .name:           _ZL12rwkv_wkv_f32ILi128EEviiiiPKfS1_S1_S1_S1_S1_Pf
    .private_segment_fixed_size: 184
    .sgpr_count:     28
    .sgpr_spill_count: 0
    .symbol:         _ZL12rwkv_wkv_f32ILi128EEviiiiPKfS1_S1_S1_S1_S1_Pf.kd
    .uniform_work_group_size: 1
    .uses_dynamic_stack: false
    .vgpr_count:     128
    .vgpr_spill_count: 67
    .wavefront_size: 32
  - .args:
      - .offset:         0
        .size:           4
        .value_kind:     by_value
      - .offset:         4
        .size:           4
        .value_kind:     by_value
      - .offset:         8
        .size:           4
        .value_kind:     by_value
      - .offset:         12
        .size:           4
        .value_kind:     by_value
      - .address_space:  global
        .offset:         16
        .size:           8
        .value_kind:     global_buffer
      - .address_space:  global
        .offset:         24
        .size:           8
        .value_kind:     global_buffer
      - .address_space:  global
        .offset:         32
        .size:           8
        .value_kind:     global_buffer
      - .address_space:  global
        .offset:         40
        .size:           8
        .value_kind:     global_buffer
      - .address_space:  global
        .offset:         48
        .size:           8
        .value_kind:     global_buffer
      - .address_space:  global
        .offset:         56
        .size:           8
        .value_kind:     global_buffer
      - .address_space:  global
        .offset:         64
        .size:           8
        .value_kind:     global_buffer
      - .address_space:  global
        .offset:         72
        .size:           8
        .value_kind:     global_buffer
    .group_segment_fixed_size: 1280
    .kernarg_segment_align: 8
    .kernarg_segment_size: 80
    .language:       OpenCL C
    .language_version:
      - 2
      - 0
    .max_flat_workgroup_size: 1024
    .name:           _ZL13rwkv_wkv7_f32ILi64EEviiiiPKfS1_S1_S1_S1_S1_S1_Pf
    .private_segment_fixed_size: 0
    .sgpr_count:     27
    .sgpr_spill_count: 0
    .symbol:         _ZL13rwkv_wkv7_f32ILi64EEviiiiPKfS1_S1_S1_S1_S1_S1_Pf.kd
    .uniform_work_group_size: 1
    .uses_dynamic_stack: false
    .vgpr_count:     96
    .vgpr_spill_count: 0
    .wavefront_size: 32
  - .args:
      - .offset:         0
        .size:           4
        .value_kind:     by_value
      - .offset:         4
        .size:           4
        .value_kind:     by_value
      - .offset:         8
        .size:           4
        .value_kind:     by_value
      - .offset:         12
        .size:           4
        .value_kind:     by_value
      - .address_space:  global
        .offset:         16
        .size:           8
        .value_kind:     global_buffer
      - .address_space:  global
        .offset:         24
        .size:           8
        .value_kind:     global_buffer
      - .address_space:  global
        .offset:         32
        .size:           8
        .value_kind:     global_buffer
      - .address_space:  global
        .offset:         40
        .size:           8
        .value_kind:     global_buffer
      - .address_space:  global
        .offset:         48
        .size:           8
        .value_kind:     global_buffer
      - .address_space:  global
        .offset:         56
        .size:           8
        .value_kind:     global_buffer
      - .address_space:  global
        .offset:         64
        .size:           8
        .value_kind:     global_buffer
      - .address_space:  global
        .offset:         72
        .size:           8
        .value_kind:     global_buffer
    .group_segment_fixed_size: 2560
    .kernarg_segment_align: 8
    .kernarg_segment_size: 80
    .language:       OpenCL C
    .language_version:
      - 2
      - 0
    .max_flat_workgroup_size: 1024
    .name:           _ZL13rwkv_wkv7_f32ILi128EEviiiiPKfS1_S1_S1_S1_S1_S1_Pf
    .private_segment_fixed_size: 164
    .sgpr_count:     30
    .sgpr_spill_count: 0
    .symbol:         _ZL13rwkv_wkv7_f32ILi128EEviiiiPKfS1_S1_S1_S1_S1_S1_Pf.kd
    .uniform_work_group_size: 1
    .uses_dynamic_stack: false
    .vgpr_count:     128
    .vgpr_spill_count: 73
    .wavefront_size: 32
amdhsa.target:   amdgcn-amd-amdhsa--gfx1250
amdhsa.version:
  - 1
  - 2
...

	.end_amdgpu_metadata
